;; amdgpu-corpus repo=ROCm/aiter kind=harvested arch=n/a opt=n/a

/root/src/amdgpu-assembly/repos/ROCm__aiter/hsa/gfx950/pa/pa_fp16_noquant_gqa8_1tg_4w_mtp_msk0.co:	file format elf64-amdgpu

Disassembly of section .text:

0000000000002200 <_ZN5aiter36pa_fp16_noquant_gqa8_1tg_4w_mtp_msk0E>:
	s_and_b32 s1, s1, 0xffff                                   // 000000002200: 8601FF01 0000FFFF
	s_load_dwordx2 s[8:9], s[0:1], 0x0                         // 000000002208: C0060200 00000000
	s_load_dwordx2 s[12:13], s[0:1], 0x10                      // 000000002210: C0060300 00000010
	s_load_dwordx2 s[16:17], s[0:1], 0x20                      // 000000002218: C0060400 00000020
	s_load_dwordx2 s[20:21], s[0:1], 0x30                      // 000000002220: C0060500 00000030
	s_load_dwordx2 s[24:25], s[0:1], 0x40                      // 000000002228: C0060600 00000040
	s_load_dwordx2 s[28:29], s[0:1], 0x50                      // 000000002230: C0060700 00000050
	s_load_dword s64, s[0:1], 0x80                             // 000000002238: C0021000 00000080
	s_load_dword s65, s[0:1], 0x90                             // 000000002240: C0021040 00000090
	s_load_dword s66, s[0:1], 0xa0                             // 000000002248: C0021080 000000A0
	s_load_dword s74, s[0:1], 0xb0                             // 000000002250: C0021280 000000B0
	s_load_dword s68, s[0:1], 0xc0                             // 000000002258: C0021100 000000C0
	s_load_dword s69, s[0:1], 0xd0                             // 000000002260: C0021140 000000D0
	s_load_dword s77, s[0:1], 0xe0                             // 000000002268: C0021340 000000E0
	s_load_dwordx2 s[80:81], s[0:1], 0xf0                      // 000000002270: C0061400 000000F0
	v_lshrrev_b32_e32 v1, 10, v0                               // 000000002278: 2002008A
	v_lshrrev_b32_e32 v2, 10, v1                               // 00000000227C: 2004028A
	v_and_b32_e32 v2, 0x3ff, v2                                // 000000002280: 260404FF 000003FF
	v_and_b32_e32 v1, 0x3ff, v1                                // 000000002288: 260202FF 000003FF
	v_and_b32_e32 v0, 0x3ff, v0                                // 000000002290: 260000FF 000003FF
	v_lshrrev_b32_e32 v3, 6, v0                                // 000000002298: 20060086
	v_and_b32_e32 v0, 63, v0                                   // 00000000229C: 260000BF
	s_mov_b32 s2, s2                                           // 0000000022A0: BE820002
	s_mov_b32 s3, s3                                           // 0000000022A4: BE830003
	s_mov_b32 s4, s4                                           // 0000000022A8: BE840004
	v_readfirstlane_b32 s7, v3                                 // 0000000022AC: 7E0E0503
	s_waitcnt lgkmcnt(0)                                       // 0000000022B0: BF8CC07F
	s_mul_i32 s67, 0x100, s77                                  // 0000000022B4: 92434DFF 00000100
	s_mul_i32 s76, 0x100, s77                                  // 0000000022BC: 924C4DFF 00000100
	s_mul_i32 s75, s66, s76                                    // 0000000022C4: 924B4C42
	s_mul_i32 s60, s3, 4                                       // 0000000022C8: 923C8403
	s_and_b32 s29, s29, 0xffff                                 // 0000000022CC: 861DFF1D 0000FFFF
	s_add_u32 s28, s60, s28                                    // 0000000022D4: 801C1C3C
	s_addc_u32 s29, 0, s29                                     // 0000000022D8: 821D1D80
	s_load_dword s72, s[28:29], 0x0                            // 0000000022DC: C002120E 00000000
	s_mul_i32 s60, s3, 4                                       // 0000000022E4: 923C8403
	s_and_b32 s81, s81, 0xffff                                 // 0000000022E8: 8651FF51 0000FFFF
	s_add_u32 s80, s60, s80                                    // 0000000022F0: 8050503C
	s_addc_u32 s81, 0, s81                                     // 0000000022F4: 82515180
	s_load_dword s84, s[80:81], 0x0                            // 0000000022F8: C0021528 00000000
	s_load_dword s85, s[80:81], 0x4                            // 000000002300: C0021568 00000004
	s_mov_b32 s10, s76                                         // 000000002308: BE8A004C
	s_mov_b32 s14, s67                                         // 00000000230C: BE8E0043
	s_mul_i32 s60, 4, s65                                      // 000000002310: 923C4184
	s_mov_b32 s26, s60                                         // 000000002314: BE9A003C
	s_mov_b32 s18, 0x80000000                                  // 000000002318: BE9200FF 80000000
	s_mov_b32 s22, 0x80000000                                  // 000000002320: BE9600FF 80000000
	s_mov_b32 s11, 0x20000                                     // 000000002328: BE8B00FF 00020000
	s_mov_b32 s15, 0x20000                                     // 000000002330: BE8F00FF 00020000
	s_mov_b32 s19, 0x20000                                     // 000000002338: BE9300FF 00020000
	s_mov_b32 s23, 0x20000                                     // 000000002340: BE9700FF 00020000
	s_mov_b32 s27, 0x20000                                     // 000000002348: BE9B00FF 00020000
	s_and_b32 s9, s9, 0xffff                                   // 000000002350: 8609FF09 0000FFFF
	s_and_b32 s13, s13, 0xffff                                 // 000000002358: 860DFF0D 0000FFFF
	s_and_b32 s17, s17, 0xffff                                 // 000000002360: 8611FF11 0000FFFF
	s_and_b32 s21, s21, 0xffff                                 // 000000002368: 8615FF15 0000FFFF
	s_and_b32 s25, s25, 0xffff                                 // 000000002370: 8619FF19 0000FFFF
	s_or_b32 s9, s9, 0x40000                                   // 000000002378: 8709FF09 00040000
	s_or_b32 s13, s13, 0x40000                                 // 000000002380: 870DFF0D 00040000
	s_or_b32 s17, s17, 0x40000                                 // 000000002388: 8711FF11 00040000
	s_or_b32 s21, s21, 0x40000                                 // 000000002390: 8715FF15 00040000
	s_or_b32 s25, s25, 0x40000                                 // 000000002398: 8719FF19 00040000
	v_accvgpr_write_b32 a255, 0                                // 0000000023A0: D3D940FF 18000080
	v_mov_b32_e32 v207, 0                                      // 0000000023A8: 7F9E0280
	s_mov_b32 s88, 0                                           // 0000000023AC: BED80080
	s_waitcnt lgkmcnt(0)                                       // 0000000023B0: BF8CC07F
	s_sub_u32 s86, s85, s84                                    // 0000000023B4: 80D65455
	s_mov_b32 s60, 2                                           // 0000000023B8: BEBC0082
	s_cmp_eq_i32 s60, s86                                      // 0000000023BC: BF00563C
	s_cbranch_scc1 label_0E73                                  // 0000000023C0: BF850E01
	s_mov_b32 s60, 3                                           // 0000000023C4: BEBC0083
	s_cmp_eq_i32 s60, s86                                      // 0000000023C8: BF00563C
	s_cbranch_scc1 label_1B17                                  // 0000000023CC: BF851AA2
	s_mov_b32 s60, 4                                           // 0000000023D0: BEBC0084
	s_cmp_eq_i32 s60, s86                                      // 0000000023D4: BF00563C
	s_cbranch_scc1 label_1B74                                  // 0000000023D8: BF851AFC
	s_mul_i32 s60, s3, s65                                     // 0000000023DC: 923C4103
	s_mul_i32 s60, s60, 4                                      // 0000000023E0: 923C843C
	s_add_u32 s24, s60, s24                                    // 0000000023E4: 8018183C
	s_addc_u32 s25, 0, s25                                     // 0000000023E8: 82191980
	s_mov_b32 s56, 64                                          // 0000000023EC: BEB800C0
	s_waitcnt lgkmcnt(0)                                       // 0000000023F0: BF8CC07F
	s_add_u32 s73, s72, 15                                     // 0000000023F4: 80498F48
	s_lshr_b32 s73, s73, 4                                     // 0000000023F8: 8F498449
	s_mul_i32 s60, s73, 4                                      // 0000000023FC: 923C8449
	s_mov_b32 s26, s60                                         // 000000002400: BE9A003C
	v_and_b32_e32 v40, 3, v0                                   // 000000002404: 26500083
	v_cmp_eq_u32_e64 s[60:61], 0, v40                          // 000000002408: D0CA003C 00025080
	v_and_b32_e32 v39, 12, v0                                  // 000000002410: 264E008C
	v_add_u32_e32 v1, s7, v39                                  // 000000002414: 68024E07
	v_cndmask_b32_e64 v1, 0, v1, s[60:61]                      // 000000002418: D1000001 00F20280
	v_and_b32_e32 v40, 3, v0                                   // 000000002420: 26500083
	v_cmp_eq_u32_e64 s[60:61], 0, v40                          // 000000002424: D0CA003C 00025080
	v_lshrrev_b32_e32 v39, 5, v0                               // 00000000242C: 204E0085
	v_and_b32_e32 v40, 14, v0                                  // 000000002430: 2650008E
	v_add_u32_e32 v39, v40, v39                                // 000000002434: 684E4F28
	v_cndmask_b32_e64 v39, v39, 0, s[60:61]                    // 000000002438: D1000027 00F10127
	v_add_u32_e32 v1, v1, v39                                  // 000000002440: 68024F01
	v_lshlrev_b32_e32 v1, 2, v1                                // 000000002444: 24020282
	v_writelane_b32 v1, 56, 7                                  // 000000002448: D28A0001 00010EB8
	v_writelane_b32 v1, 56, 23                                 // 000000002450: D28A0001 00012EB8
	v_writelane_b32 v1, 60, 39                                 // 000000002458: D28A0001 00014EBC
	v_writelane_b32 v1, 60, 55                                 // 000000002460: D28A0001 00016EBC
	buffer_load_dword v17, v1, s[24:27], 0 offen               // 000000002468: E0501000 80061101
	v_add_u32_e32 v1, s56, v1                                  // 000000002470: 68020238
	buffer_load_dword v18, v1, s[24:27], 0 offen               // 000000002474: E0501000 80061201
	s_cmp_le_u32 s73, 32                                       // 00000000247C: BF0BA049
	s_cselect_b32 s56, 0, s56                                  // 000000002480: 85383880
	s_mul_i32 s61, s2, s67                                     // 000000002484: 923D4302
	s_mul_i32 s60, s84, s74                                    // 000000002488: 923C4A54
	s_add_u32 s60, s60, s61                                    // 00000000248C: 803C3D3C
	s_add_u32 s12, s60, s12                                    // 000000002490: 800C0C3C
	s_addc_u32 s13, 0, s13                                     // 000000002494: 820D0D80
	s_mul_i32 s60, s7, 0x420                                   // 000000002498: 923CFF07 00000420
	s_add_u32 m0, 0, s60                                       // 0000000024A0: 807C3C80
	s_mul_i32 s60, s7, 0x100                                   // 0000000024A4: 923CFF07 00000100
	v_lshlrev_b32_e32 v39, 2, v0                               // 0000000024AC: 244E0082
	v_add_u32_e64 v39, v39, s60                                // 0000000024B0: D1340027 00007927
	buffer_load_dword v39, s[12:15], 0 offen lds               // 0000000024B8: E0511000 80030027
	s_add_u32 m0, m0, 0x100                                    // 0000000024C0: 807CFF7C 00000100
	v_add_u32_e32 v39, 0x400, v39                              // 0000000024C8: 684E4EFF 00000400
	buffer_load_dword v39, s[12:15], 0 offen lds               // 0000000024D0: E0511000 80030027
	s_add_u32 m0, m0, 0x100                                    // 0000000024D8: 807CFF7C 00000100
	v_add_u32_e32 v39, 0x400, v39                              // 0000000024E0: 684E4EFF 00000400
	s_mul_i32 s60, s7, 0x420                                   // 0000000024E8: 923CFF07 00000420
	v_lshlrev_b32_e32 v39, 2, v0                               // 0000000024F0: 244E0082
	v_add_u32_e64 v39, v39, s60                                // 0000000024F4: D1340027 00007927
	v_mov_b32_e32 v40, 0                                       // 0000000024FC: 7E500280
	ds_write_b32 v39, v40 offset:512                           // 000000002500: D81A0200 00002827
	ds_write_b32 v39, v40 offset:768                           // 000000002508: D81A0300 00002827
	s_mul_i32 s61, s2, s76                                     // 000000002510: 923D4C02
	s_mul_i32 s60, s84, s75                                    // 000000002514: 923C4B54
	s_add_u32 s60, s60, s61                                    // 000000002518: 803C3D3C
	s_add_u32 s8, s60, s8                                      // 00000000251C: 8008083C
	s_addc_u32 s9, 0, s9                                       // 000000002520: 82090980
	s_mul_i32 s60, s7, 0x100                                   // 000000002524: 923CFF07 00000100
	v_lshlrev_b32_e32 v8, 2, v0                                // 00000000252C: 24100082
	v_add_u32_e64 v8, v8, s60                                  // 000000002530: D1340008 00007908
	s_mov_b32 s70, 0                                           // 000000002538: BEC60080
	s_and_b32 s71, s72, 0xffffff00                             // 00000000253C: 8647FF48 FFFFFF00
	v_mov_b32_e32 v54, s68                                     // 000000002544: 7E6C0244
	v_mov_b32_e32 v9, -1                                       // 000000002548: 7E1202C1
	s_mov_b32 s52, 0x7060302                                   // 00000000254C: BEB400FF 07060302
	s_mov_b32 s53, 0x400                                       // 000000002554: BEB500FF 00000400
	s_mov_b32 s54, 0x40100                                     // 00000000255C: BEB600FF 00040100
	s_mov_b32 s55, 0x4020100                                   // 000000002564: BEB700FF 04020100
	v_mov_b32_dpp v9, v9 row_shl:8 row_mask:0xf bank_mask:0xf bound_ctrl:1// 00000000256C: 7E1202FA FF090809
	s_mov_b32 s6, 0x3fb8aa3b                                   // 000000002574: BE8600FF 3FB8AA3B
	v_mov_b32_e32 v14, 0xff800000                              // 00000000257C: 7E1C02FF FF800000
	v_mov_b32_e32 v55, 0xff800000                              // 000000002584: 7E6E02FF FF800000
	v_mov_b32_e32 v51, 0                                       // 00000000258C: 7E660280
	v_mov_b32_e32 v43, 0                                       // 000000002590: 7E560280
	v_mov_b32_e32 v20, 0xffff0000                              // 000000002594: 7E2802FF FFFF0000
	v_mov_b32_e32 v21, 0x7fff0000                              // 00000000259C: 7E2A02FF 7FFF0000
	v_mov_b32_e32 v22, 0x7fff                                  // 0000000025A4: 7E2C02FF 00007FFF
	v_add_u32_e32 v1, s56, v1                                  // 0000000025AC: 68020238
	v_and_b32_e32 v10, 15, v0                                  // 0000000025B0: 2614008F
	v_lshlrev_b32_e32 v10, 2, v10                              // 0000000025B4: 24141482
	v_lshlrev_b32_e32 v11, 2, v0                               // 0000000025B8: 24160082
	s_mul_i32 s60, 0x100, s7                                   // 0000000025BC: 923C07FF 00000100
	v_add_u32_e32 v11, s60, v11                                // 0000000025C4: 6816163C
	v_lshrrev_b32_e32 v39, 4, v0                               // 0000000025C8: 204E0084
	v_lshlrev_b32_e32 v40, 6, v39                              // 0000000025CC: 24504E86
	v_and_b32_e32 v39, 15, v0                                  // 0000000025D0: 264E008F
	v_lshlrev_b32_e32 v39, 1, v39                              // 0000000025D4: 244E4E81
	v_add_u32_e32 v40, v39, v40                                // 0000000025D8: 68505127
	v_lshlrev_b32_e32 v12, 2, v40                              // 0000000025DC: 24185082
	v_lshlrev_b32_e32 v39, 3, v0                               // 0000000025E0: 244E0083
	s_mul_i32 s60, 0x200, s7                                   // 0000000025E4: 923C07FF 00000200
	v_add_u32_e64 v13, v39, s60                                // 0000000025EC: D134000D 00007927
	v_lshlrev_b32_e32 v6, 4, v0                                // 0000000025F4: 240C0084
	s_mul_i32 s60, s2, s69                                     // 0000000025F8: 923C4502
	s_add_u32 s16, s60, s16                                    // 0000000025FC: 8010103C
	s_addc_u32 s17, 0, s17                                     // 000000002600: 82111180
	v_and_b32_e32 v39, 15, v0                                  // 000000002604: 264E008F
	v_lshlrev_b32_e32 v7, 4, v39                               // 000000002608: 240E4E84
	v_and_b32_e32 v39, 31, v0                                  // 00000000260C: 264E009F
	v_lshrrev_b32_e32 v39, 4, v39                              // 000000002610: 204E4E84
	v_mul_i32_i24_e32 v39, 0x800, v39                          // 000000002614: 0C4E4EFF 00000800
	v_add_u32_e32 v7, v39, v7                                  // 00000000261C: 680E0F27
	s_mul_i32 s61, s2, s69                                     // 000000002620: 923D4502
	s_mul_i32 s60, s7, 0x100                                   // 000000002624: 923CFF07 00000100
	s_add_u32 s60, s60, s61                                    // 00000000262C: 803C3D3C
	s_add_u32 s20, s60, s20                                    // 000000002630: 8014143C
	s_addc_u32 s21, 0, s21                                     // 000000002634: 82151580
	s_waitcnt vmcnt(2)                                         // 000000002638: BF8C0F72
	v_mul_u32_u24_dpp v39, v17, v54 row_newbcast:0 row_mask:0xf bank_mask:0xf// 00000000263C: 104E6CFA FF015011
	v_mul_u32_u24_dpp v40, v17, v54 row_newbcast:4 row_mask:0xf bank_mask:0xf// 000000002644: 10506CFA FF015411
	v_mul_u32_u24_dpp v41, v17, v54 row_newbcast:8 row_mask:0xf bank_mask:0xf// 00000000264C: 10526CFA FF015811
	v_mul_u32_u24_dpp v42, v17, v54 row_newbcast:12 row_mask:0xf bank_mask:0xf// 000000002654: 10546CFA FF015C11
	v_add_u32_e32 v23, v39, v6                                 // 00000000265C: 682E0D27
	v_add_u32_e32 v24, v40, v6                                 // 000000002660: 68300D28
	v_add_u32_e32 v25, v41, v6                                 // 000000002664: 68320D29
	v_add_u32_e32 v26, v42, v6                                 // 000000002668: 68340D2A
	v_mul_u32_u24_dpp v39, v17, v54 row_newbcast:1 row_mask:0xf bank_mask:0xf// 00000000266C: 104E6CFA FF015111
	v_mul_u32_u24_dpp v40, v17, v54 row_newbcast:2 row_mask:0xf bank_mask:0xf// 000000002674: 10506CFA FF015211
	v_mul_u32_u24_dpp v41, v17, v54 row_newbcast:5 row_mask:0xf bank_mask:0xf// 00000000267C: 10526CFA FF015511
	v_mul_u32_u24_dpp v42, v17, v54 row_newbcast:6 row_mask:0xf bank_mask:0xf// 000000002684: 10546CFA FF015611
	v_add_u32_e32 v192, v39, v7                                // 00000000268C: 69800F27
	v_add_u32_e32 v193, v40, v7                                // 000000002690: 69820F28
	v_add_u32_e32 v194, v41, v7                                // 000000002694: 69840F29
	v_add_u32_e32 v195, v42, v7                                // 000000002698: 69860F2A
	v_mul_u32_u24_dpp v39, v17, v54 row_newbcast:9 row_mask:0xf bank_mask:0xf// 00000000269C: 104E6CFA FF015911
	v_mul_u32_u24_dpp v40, v17, v54 row_newbcast:10 row_mask:0xf bank_mask:0xf// 0000000026A4: 10506CFA FF015A11
	v_mul_u32_u24_dpp v41, v17, v54 row_newbcast:13 row_mask:0xf bank_mask:0xf// 0000000026AC: 10526CFA FF015D11
	v_mul_u32_u24_dpp v42, v17, v54 row_newbcast:7 row_mask:0xf bank_mask:0xf// 0000000026B4: 10546CFA FF015711
	v_add_u32_e32 v196, v39, v7                                // 0000000026BC: 69880F27
	v_add_u32_e32 v197, v40, v7                                // 0000000026C0: 698A0F28
	v_add_u32_e32 v198, v41, v7                                // 0000000026C4: 698C0F29
	v_add_u32_e32 v199, v42, v7                                // 0000000026C8: 698E0F2A
	buffer_load_dwordx4 a[0:3], v23, s[16:19], 0 offen         // 0000000026CC: E05C1000 80840017
	buffer_load_dwordx4 a[4:7], v23, s[16:19], 0 offen offset:1024// 0000000026D4: E05C1400 80840417
	buffer_load_dwordx4 a[8:11], v23, s[16:19], 0 offen offset:2048// 0000000026DC: E05C1800 80840817
	buffer_load_dwordx4 a[12:15], v23, s[16:19], 0 offen offset:3072// 0000000026E4: E05C1C00 80840C17
	buffer_load_dwordx4 a[16:19], v24, s[16:19], 0 offen       // 0000000026EC: E05C1000 80841018
	buffer_load_dwordx4 a[20:23], v24, s[16:19], 0 offen offset:1024// 0000000026F4: E05C1400 80841418
	buffer_load_dwordx4 a[24:27], v24, s[16:19], 0 offen offset:2048// 0000000026FC: E05C1800 80841818
	buffer_load_dwordx4 a[28:31], v24, s[16:19], 0 offen offset:3072// 000000002704: E05C1C00 80841C18
	buffer_load_dwordx4 a[32:35], v25, s[16:19], 0 offen       // 00000000270C: E05C1000 80842019
	buffer_load_dwordx4 a[36:39], v25, s[16:19], 0 offen offset:1024// 000000002714: E05C1400 80842419
	buffer_load_dwordx4 a[40:43], v25, s[16:19], 0 offen offset:2048// 00000000271C: E05C1800 80842819
	buffer_load_dwordx4 a[44:47], v25, s[16:19], 0 offen offset:3072// 000000002724: E05C1C00 80842C19
	buffer_load_dwordx4 a[48:51], v26, s[16:19], 0 offen       // 00000000272C: E05C1000 8084301A
	buffer_load_dwordx4 a[52:55], v26, s[16:19], 0 offen offset:1024// 000000002734: E05C1400 8084341A
	buffer_load_dwordx4 a[56:59], v26, s[16:19], 0 offen offset:2048// 00000000273C: E05C1800 8084381A
	buffer_load_dwordx4 a[60:63], v26, s[16:19], 0 offen offset:3072// 000000002744: E05C1C00 80843C1A
	buffer_load_dwordx4 a[128:131], v192, s[20:23], 0 offen    // 00000000274C: E05C1000 808580C0
	buffer_load_dwordx4 a[132:135], v193, s[20:23], 0 offen    // 000000002754: E05C1000 808584C1
	buffer_load_dwordx4 a[136:139], v194, s[20:23], 0 offen    // 00000000275C: E05C1000 808588C2
	buffer_load_dwordx4 a[140:143], v195, s[20:23], 0 offen    // 000000002764: E05C1000 80858CC3
	buffer_load_dwordx4 a[144:147], v196, s[20:23], 0 offen    // 00000000276C: E05C1000 808590C4
	buffer_load_dwordx4 a[148:151], v197, s[20:23], 0 offen    // 000000002774: E05C1000 808594C5
	buffer_load_dwordx4 a[152:155], v198, s[20:23], 0 offen    // 00000000277C: E05C1000 808598C6
	buffer_load_dwordx4 a[156:159], v199, s[20:23], 0 offen    // 000000002784: E05C1000 80859CC7
	buffer_load_dwordx4 a[160:163], v192, s[20:23], 0 offen offset:1024// 00000000278C: E05C1400 8085A0C0
	buffer_load_dwordx4 a[164:167], v193, s[20:23], 0 offen offset:1024// 000000002794: E05C1400 8085A4C1
	buffer_load_dwordx4 a[168:171], v194, s[20:23], 0 offen offset:1024// 00000000279C: E05C1400 8085A8C2
	buffer_load_dwordx4 a[172:175], v195, s[20:23], 0 offen offset:1024// 0000000027A4: E05C1400 8085ACC3
	buffer_load_dwordx4 a[176:179], v196, s[20:23], 0 offen offset:1024// 0000000027AC: E05C1400 8085B0C4
	buffer_load_dwordx4 a[180:183], v197, s[20:23], 0 offen offset:1024// 0000000027B4: E05C1400 8085B4C5
	buffer_load_dwordx4 a[184:187], v198, s[20:23], 0 offen offset:1024// 0000000027BC: E05C1400 8085B8C6
	buffer_load_dwordx4 a[188:191], v199, s[20:23], 0 offen offset:1024// 0000000027C4: E05C1400 8085BCC7
	v_lshrrev_b32_e32 v39, 4, v0                               // 0000000027CC: 204E0084
	v_lshlrev_b32_e32 v40, 2, v39                              // 0000000027D0: 24504E82
	v_and_b32_e32 v39, 15, v0                                  // 0000000027D4: 264E008F
	v_lshrrev_b32_e32 v41, 2, v39                              // 0000000027D8: 20524E82
	v_lshlrev_b32_e32 v41, 6, v41                              // 0000000027DC: 24525286
	v_add_u32_e32 v40, v41, v40                                // 0000000027E0: 68505129
	v_and_b32_e32 v39, 3, v0                                   // 0000000027E4: 264E0083
	v_mul_i32_i24_e32 v41, 0x108, v39                          // 0000000027E8: 0C524EFF 00000108
	v_add_u32_e32 v40, v41, v40                                // 0000000027F0: 68505129
	v_lshlrev_b32_e32 v4, 2, v40                               // 0000000027F4: 24085082
	s_waitcnt vmcnt(32) lgkmcnt(0)                             // 0000000027F8: BF8C8070
	s_barrier                                                  // 0000000027FC: BF8A0000
	ds_read_b128 v[80:83], v4                                  // 000000002800: D9FE0000 50000004
	ds_read_b128 v[84:87], v4 offset:64                        // 000000002808: D9FE0040 54000004
	ds_read_b128 v[88:91], v4 offset:128                       // 000000002810: D9FE0080 58000004
	ds_read_b128 v[92:95], v4 offset:192                       // 000000002818: D9FE00C0 5C000004
	v_mov_b32_e32 v176, 0                                      // 000000002820: 7F600280
	v_mov_b32_e32 v177, 0                                      // 000000002824: 7F620280
	v_mov_b32_e32 v178, 0                                      // 000000002828: 7F640280
	v_mov_b32_e32 v179, 0                                      // 00000000282C: 7F660280
	v_mov_b32_e32 v180, 0                                      // 000000002830: 7F680280
	v_mov_b32_e32 v181, 0                                      // 000000002834: 7F6A0280
	v_mov_b32_e32 v182, 0                                      // 000000002838: 7F6C0280
	v_mov_b32_e32 v183, 0                                      // 00000000283C: 7F6E0280
	s_waitcnt vmcnt(16) lgkmcnt(0)                             // 000000002840: BF8C4070
	s_barrier                                                  // 000000002844: BF8A0000
	v_mul_u32_u24_dpp v39, v18, v54 row_newbcast:0 row_mask:0xf bank_mask:0xf// 000000002848: 104E6CFA FF015012
	v_mul_u32_u24_dpp v40, v18, v54 row_newbcast:4 row_mask:0xf bank_mask:0xf// 000000002850: 10506CFA FF015412
	v_mul_u32_u24_dpp v41, v18, v54 row_newbcast:8 row_mask:0xf bank_mask:0xf// 000000002858: 10526CFA FF015812
	v_mul_u32_u24_dpp v42, v18, v54 row_newbcast:12 row_mask:0xf bank_mask:0xf// 000000002860: 10546CFA FF015C12
	v_add_u32_e32 v27, v39, v6                                 // 000000002868: 68360D27
	v_add_u32_e32 v28, v40, v6                                 // 00000000286C: 68380D28
	v_add_u32_e32 v29, v41, v6                                 // 000000002870: 683A0D29
	v_add_u32_e32 v30, v42, v6                                 // 000000002874: 683C0D2A
	v_mul_u32_u24_dpp v39, v18, v54 row_newbcast:1 row_mask:0xf bank_mask:0xf// 000000002878: 104E6CFA FF015112
	v_mul_u32_u24_dpp v40, v18, v54 row_newbcast:2 row_mask:0xf bank_mask:0xf// 000000002880: 10506CFA FF015212
	v_mul_u32_u24_dpp v41, v18, v54 row_newbcast:5 row_mask:0xf bank_mask:0xf// 000000002888: 10526CFA FF015512
	v_mul_u32_u24_dpp v42, v18, v54 row_newbcast:6 row_mask:0xf bank_mask:0xf// 000000002890: 10546CFA FF015612
	v_add_u32_e32 v200, v39, v7                                // 000000002898: 69900F27
	v_add_u32_e32 v201, v40, v7                                // 00000000289C: 69920F28
	v_add_u32_e32 v202, v41, v7                                // 0000000028A0: 69940F29
	v_add_u32_e32 v203, v42, v7                                // 0000000028A4: 69960F2A
	v_mul_u32_u24_dpp v39, v18, v54 row_newbcast:9 row_mask:0xf bank_mask:0xf// 0000000028A8: 104E6CFA FF015912
	v_mul_u32_u24_dpp v40, v18, v54 row_newbcast:10 row_mask:0xf bank_mask:0xf// 0000000028B0: 10506CFA FF015A12
	v_mul_u32_u24_dpp v41, v18, v54 row_newbcast:13 row_mask:0xf bank_mask:0xf// 0000000028B8: 10526CFA FF015D12
	v_mul_u32_u24_dpp v42, v18, v54 row_newbcast:7 row_mask:0xf bank_mask:0xf// 0000000028C0: 10546CFA FF015712
	v_add_u32_e32 v204, v39, v7                                // 0000000028C8: 69980F27
	v_add_u32_e32 v205, v40, v7                                // 0000000028CC: 699A0F28
	v_add_u32_e32 v206, v41, v7                                // 0000000028D0: 699C0F29
	v_add_u32_e32 v207, v42, v7                                // 0000000028D4: 699E0F2A
	s_cmp_lt_u32 s73, 16                                       // 0000000028D8: BF0A9049
	s_cbranch_scc1 label_0A67                                  // 0000000028DC: BF8508AE
	s_cmp_lt_i32 s7, 2                                         // 0000000028E0: BF048207
	s_cbranch_scc0 label_0552                                  // 0000000028E4: BF840398

00000000000028e8 <label_01BA>:
	s_waitcnt vmcnt(16) lgkmcnt(0)                             // 0000000028E8: BF8C4070
	v_mfma_f32_16x16x16_f16 v[112:115], a[0:1], v[80:81], 0    // 0000000028EC: D3CD0070 0A02A100
	v_mfma_f32_16x16x16_f16 v[112:115], a[2:3], v[82:83], v[112:115]// 0000000028F4: D3CD0070 0DC2A502
	buffer_load_dwordx4 a[64:67], v27, s[16:19], 0 offen       // 0000000028FC: E05C1000 8084401B
	v_mfma_f32_16x16x16_f16 v[112:115], a[4:5], v[84:85], v[112:115]// 000000002904: D3CD0070 0DC2A904
	v_mfma_f32_16x16x16_f16 v[112:115], a[6:7], v[86:87], v[112:115]// 00000000290C: D3CD0070 0DC2AD06
	buffer_load_dword v17, v1, s[24:27], 0 offen               // 000000002914: E0501000 80061101
	v_mfma_f32_16x16x16_f16 v[112:115], a[8:9], v[88:89], v[112:115]// 00000000291C: D3CD0070 0DC2B108
	v_mfma_f32_16x16x16_f16 v[112:115], a[10:11], v[90:91], v[112:115]// 000000002924: D3CD0070 0DC2B50A
	buffer_load_dwordx4 a[68:71], v27, s[16:19], 0 offen offset:1024// 00000000292C: E05C1400 8084441B
	v_mfma_f32_16x16x16_f16 v[112:115], a[12:13], v[92:93], v[112:115]// 000000002934: D3CD0070 0DC2B90C
	v_mfma_f32_16x16x16_f16 v[112:115], a[14:15], v[94:95], v[112:115]// 00000000293C: D3CD0070 0DC2BD0E
	v_mfma_f32_16x16x16_f16 v[116:119], a[16:17], v[80:81], 0  // 000000002944: D3CD0074 0A02A110
	v_mfma_f32_16x16x16_f16 v[116:119], a[18:19], v[82:83], v[116:119]// 00000000294C: D3CD0074 0DD2A512
	buffer_load_dwordx4 a[72:75], v27, s[16:19], 0 offen offset:2048// 000000002954: E05C1800 8084481B
	v_mfma_f32_16x16x16_f16 v[116:119], a[20:21], v[84:85], v[116:119]// 00000000295C: D3CD0074 0DD2A914
	v_mfma_f32_16x16x16_f16 v[116:119], a[22:23], v[86:87], v[116:119]// 000000002964: D3CD0074 0DD2AD16
	v_mfma_f32_16x16x16_f16 v[116:119], a[24:25], v[88:89], v[116:119]// 00000000296C: D3CD0074 0DD2B118
	v_mfma_f32_16x16x16_f16 v[116:119], a[26:27], v[90:91], v[116:119]// 000000002974: D3CD0074 0DD2B51A
	buffer_load_dwordx4 a[76:79], v27, s[16:19], 0 offen offset:3072// 00000000297C: E05C1C00 80844C1B
	v_mfma_f32_16x16x16_f16 v[116:119], a[28:29], v[92:93], v[116:119]// 000000002984: D3CD0074 0DD2B91C
	v_mfma_f32_16x16x16_f16 v[116:119], a[30:31], v[94:95], v[116:119]// 00000000298C: D3CD0074 0DD2BD1E
	v_mfma_f32_16x16x16_f16 v[120:123], a[32:33], v[80:81], 0  // 000000002994: D3CD0078 0A02A120
	v_mfma_f32_16x16x16_f16 v[120:123], a[34:35], v[82:83], v[120:123]// 00000000299C: D3CD0078 0DE2A522
	buffer_load_dwordx4 a[80:83], v28, s[16:19], 0 offen       // 0000000029A4: E05C1000 8084501C
	v_mfma_f32_16x16x16_f16 v[120:123], a[36:37], v[84:85], v[120:123]// 0000000029AC: D3CD0078 0DE2A924
	v_mfma_f32_16x16x16_f16 v[120:123], a[38:39], v[86:87], v[120:123]// 0000000029B4: D3CD0078 0DE2AD26
	v_mfma_f32_16x16x16_f16 v[120:123], a[40:41], v[88:89], v[120:123]// 0000000029BC: D3CD0078 0DE2B128
	v_mfma_f32_16x16x16_f16 v[120:123], a[42:43], v[90:91], v[120:123]// 0000000029C4: D3CD0078 0DE2B52A
	buffer_load_dwordx4 a[84:87], v28, s[16:19], 0 offen offset:1024// 0000000029CC: E05C1400 8084541C
	v_mfma_f32_16x16x16_f16 v[120:123], a[44:45], v[92:93], v[120:123]// 0000000029D4: D3CD0078 0DE2B92C
	v_mfma_f32_16x16x16_f16 v[120:123], a[46:47], v[94:95], v[120:123]// 0000000029DC: D3CD0078 0DE2BD2E
	v_mfma_f32_16x16x16_f16 v[124:127], a[48:49], v[80:81], 0  // 0000000029E4: D3CD007C 0A02A130
	v_mfma_f32_16x16x16_f16 v[124:127], a[50:51], v[82:83], v[124:127]// 0000000029EC: D3CD007C 0DF2A532
	buffer_load_dwordx4 a[88:91], v28, s[16:19], 0 offen offset:2048// 0000000029F4: E05C1800 8084581C
	v_mfma_f32_16x16x16_f16 v[124:127], a[52:53], v[84:85], v[124:127]// 0000000029FC: D3CD007C 0DF2A934
	v_mfma_f32_16x16x16_f16 v[124:127], a[54:55], v[86:87], v[124:127]// 000000002A04: D3CD007C 0DF2AD36
	v_mfma_f32_16x16x16_f16 v[124:127], a[56:57], v[88:89], v[124:127]// 000000002A0C: D3CD007C 0DF2B138
	v_mfma_f32_16x16x16_f16 v[124:127], a[58:59], v[90:91], v[124:127]// 000000002A14: D3CD007C 0DF2B53A
	buffer_load_dwordx4 a[92:95], v28, s[16:19], 0 offen offset:3072// 000000002A1C: E05C1C00 80845C1C
	v_mfma_f32_16x16x16_f16 v[124:127], a[60:61], v[92:93], v[124:127]// 000000002A24: D3CD007C 0DF2B93C
	v_mfma_f32_16x16x16_f16 v[124:127], a[62:63], v[94:95], v[124:127]// 000000002A2C: D3CD007C 0DF2BD3E
	buffer_load_dwordx4 a[96:99], v29, s[16:19], 0 offen       // 000000002A34: E05C1000 8084601D
	s_nop 8                                                    // 000000002A3C: BF800008
	v_or_b32_dpp v112, v120, v112 row_shr:8 row_mask:0xf bank_mask:0xf bound_ctrl:1// 000000002A40: 28E0E0FA FF091878
	v_or_b32_dpp v113, v121, v113 row_shr:8 row_mask:0xf bank_mask:0xf bound_ctrl:1// 000000002A48: 28E2E2FA FF091879
	v_or_b32_dpp v114, v122, v114 row_shr:8 row_mask:0xf bank_mask:0xf bound_ctrl:1// 000000002A50: 28E4E4FA FF09187A
	v_or_b32_dpp v115, v123, v115 row_shr:8 row_mask:0xf bank_mask:0xf bound_ctrl:1// 000000002A58: 28E6E6FA FF09187B
	v_or_b32_dpp v116, v124, v116 row_shr:8 row_mask:0xf bank_mask:0xf bound_ctrl:1// 000000002A60: 28E8E8FA FF09187C
	v_or_b32_dpp v117, v125, v117 row_shr:8 row_mask:0xf bank_mask:0xf bound_ctrl:1// 000000002A68: 28EAEAFA FF09187D
	v_or_b32_dpp v118, v126, v118 row_shr:8 row_mask:0xf bank_mask:0xf bound_ctrl:1// 000000002A70: 28ECECFA FF09187E
	v_or_b32_dpp v119, v127, v119 row_shr:8 row_mask:0xf bank_mask:0xf bound_ctrl:1// 000000002A78: 28EEEEFA FF09187F
	buffer_load_dwordx4 a[100:103], v29, s[16:19], 0 offen offset:1024// 000000002A80: E05C1400 8084641D
	v_mov_b32_e32 v50, v112                                    // 000000002A88: 7E640370
	v_max3_f32 v50, v112, v113, v50                            // 000000002A8C: D1D30032 04CAE370
	v_max3_f32 v50, v114, v115, v50                            // 000000002A94: D1D30032 04CAE772
	v_max3_f32 v50, v116, v117, v50                            // 000000002A9C: D1D30032 04CAEB74
	v_max3_f32 v50, v118, v119, v50                            // 000000002AA4: D1D30032 04CAEF76
	ds_write_b32 v11, v50                                      // 000000002AAC: D81A0000 0000320B
	buffer_load_dwordx4 a[104:107], v29, s[16:19], 0 offen offset:2048// 000000002AB4: E05C1800 8084681D
	s_waitcnt lgkmcnt(0)                                       // 000000002ABC: BF8CC07F
	s_barrier                                                  // 000000002AC0: BF8A0000
	ds_read_b32 v64, v10                                       // 000000002AC4: D86C0000 4000000A
	buffer_load_dwordx4 a[108:111], v29, s[16:19], 0 offen offset:3072// 000000002ACC: E05C1C00 80846C1D
	ds_read_b32 v65, v10 offset:64                             // 000000002AD4: D86C0040 4100000A
	ds_read_b32 v66, v10 offset:128                            // 000000002ADC: D86C0080 4200000A
	ds_read_b32 v67, v10 offset:192                            // 000000002AE4: D86C00C0 4300000A
	ds_read_b32 v68, v10 offset:256                            // 000000002AEC: D86C0100 4400000A
	ds_read_b32 v69, v10 offset:320                            // 000000002AF4: D86C0140 4500000A
	ds_read_b32 v70, v10 offset:384                            // 000000002AFC: D86C0180 4600000A
	ds_read_b32 v71, v10 offset:448                            // 000000002B04: D86C01C0 4700000A
	ds_read_b32 v72, v10 offset:512                            // 000000002B0C: D86C0200 4800000A
	buffer_load_dwordx4 a[112:115], v30, s[16:19], 0 offen     // 000000002B14: E05C1000 8084701E
	ds_read_b32 v73, v10 offset:576                            // 000000002B1C: D86C0240 4900000A
	ds_read_b32 v74, v10 offset:640                            // 000000002B24: D86C0280 4A00000A
	ds_read_b32 v75, v10 offset:704                            // 000000002B2C: D86C02C0 4B00000A
	ds_read_b32 v76, v10 offset:768                            // 000000002B34: D86C0300 4C00000A
	ds_read_b32 v77, v10 offset:832                            // 000000002B3C: D86C0340 4D00000A
	ds_read_b32 v78, v10 offset:896                            // 000000002B44: D86C0380 4E00000A
	ds_read_b32 v79, v10 offset:960                            // 000000002B4C: D86C03C0 4F00000A
	buffer_load_dwordx4 a[116:119], v30, s[16:19], 0 offen offset:1024// 000000002B54: E05C1400 8084741E
	buffer_load_dwordx4 a[120:123], v30, s[16:19], 0 offen offset:2048// 000000002B5C: E05C1800 8084781E
	s_waitcnt lgkmcnt(0)                                       // 000000002B64: BF8CC07F
	v_max3_f32 v50, v64, v65, v50                              // 000000002B68: D1D30032 04CA8340
	v_max3_f32 v50, v66, v67, v50                              // 000000002B70: D1D30032 04CA8742
	v_max3_f32 v50, v68, v69, v50                              // 000000002B78: D1D30032 04CA8B44
	v_max3_f32 v50, v70, v71, v50                              // 000000002B80: D1D30032 04CA8F46
	v_max3_f32 v50, v72, v73, v50                              // 000000002B88: D1D30032 04CA9348
	v_max3_f32 v50, v74, v75, v50                              // 000000002B90: D1D30032 04CA974A
	v_max3_f32 v50, v76, v77, v50                              // 000000002B98: D1D30032 04CA9B4C
	v_max3_f32 v50, v78, v79, v50                              // 000000002BA0: D1D30032 04CA9F4E
	buffer_load_dwordx4 a[124:127], v30, s[16:19], 0 offen offset:3072// 000000002BA8: E05C1C00 80847C1E
	v_cmp_eq_u32_e64 s[40:41], v55, v14                        // 000000002BB0: D0CA0028 00021D37
	s_nop 1                                                    // 000000002BB8: BF800001
	v_mov_b32_dpp v39, v50 row_ror:8 row_mask:0xf bank_mask:0xf// 000000002BBC: 7E4E02FA FF012832
	v_max_f32_e32 v50, v50, v39                                // 000000002BC4: 16644F32
	v_max_f32_e32 v16, v50, v14                                // 000000002BC8: 16201D32
	v_sub_f32_e32 v51, v14, v16                                // 000000002BCC: 0466210E
	v_cndmask_b32_e64 v51, v51, 0, s[40:41]                    // 000000002BD0: D1000033 00A10133
	v_mov_b32_e32 v14, v16                                     // 000000002BD8: 7E1C0310
	v_mul_f32_e32 v53, s64, v16                                // 000000002BDC: 0A6A2040
	v_mul_f32_e32 v51, s64, v51                                // 000000002BE0: 0A666640
	v_exp_f32_e32 v51, v51                                     // 000000002BE4: 7E664133
	buffer_load_dwordx4 a[192:195], v200, s[20:23], 0 offen    // 000000002BE8: E05C1000 8085C0C8
	v_fma_f32 v112, v112, s64, -v53                            // 000000002BF0: D1CB0070 84D48170
	v_fma_f32 v113, v113, s64, -v53                            // 000000002BF8: D1CB0071 84D48171
	v_fma_f32 v114, v114, s64, -v53                            // 000000002C00: D1CB0072 84D48172
	v_fma_f32 v115, v115, s64, -v53                            // 000000002C08: D1CB0073 84D48173
	v_fma_f32 v116, v116, s64, -v53                            // 000000002C10: D1CB0074 84D48174
	v_fma_f32 v117, v117, s64, -v53                            // 000000002C18: D1CB0075 84D48175
	v_fma_f32 v118, v118, s64, -v53                            // 000000002C20: D1CB0076 84D48176
	v_fma_f32 v119, v119, s64, -v53                            // 000000002C28: D1CB0077 84D48177
	v_exp_f32_e32 v112, v112                                   // 000000002C30: 7EE04170
	v_exp_f32_e32 v113, v113                                   // 000000002C34: 7EE24171
	v_exp_f32_e32 v114, v114                                   // 000000002C38: 7EE44172
	v_exp_f32_e32 v115, v115                                   // 000000002C3C: 7EE64173
	v_exp_f32_e32 v116, v116                                   // 000000002C40: 7EE84174
	v_exp_f32_e32 v117, v117                                   // 000000002C44: 7EEA4175
	v_exp_f32_e32 v118, v118                                   // 000000002C48: 7EEC4176
	v_exp_f32_e32 v119, v119                                   // 000000002C4C: 7EEE4177
	buffer_load_dwordx4 a[196:199], v201, s[20:23], 0 offen    // 000000002C50: E05C1000 8085C4C9
	v_mul_f32_e32 v43, v51, v43                                // 000000002C58: 0A565733
	v_mov_b32_e32 v45, v112                                    // 000000002C5C: 7E5A0370
	v_add_f32_e32 v45, v113, v45                               // 000000002C60: 025A5B71
	v_add_f32_e32 v45, v114, v45                               // 000000002C64: 025A5B72
	v_add_f32_e32 v45, v115, v45                               // 000000002C68: 025A5B73
	v_add_f32_e32 v45, v116, v45                               // 000000002C6C: 025A5B74
	v_add_f32_e32 v45, v117, v45                               // 000000002C70: 025A5B75
	v_add_f32_e32 v45, v118, v45                               // 000000002C74: 025A5B76
	v_add_f32_e32 v45, v119, v45                               // 000000002C78: 025A5B77
	v_add_f32_e32 v43, v45, v43                                // 000000002C7C: 0256572D
	buffer_load_dwordx4 a[200:203], v202, s[20:23], 0 offen    // 000000002C80: E05C1000 8085C8CA
	v_cvt_pkrtz_f16_f32 v39, v112, v113                        // 000000002C88: D2960027 0002E370
	v_mov_b32_e32 v112, v39                                    // 000000002C90: 7EE00327
	v_cvt_pkrtz_f16_f32 v39, v114, v115                        // 000000002C94: D2960027 0002E772
	v_mov_b32_e32 v113, v39                                    // 000000002C9C: 7EE20327
	v_cvt_pkrtz_f16_f32 v39, v116, v117                        // 000000002CA0: D2960027 0002EB74
	v_mov_b32_e32 v114, v39                                    // 000000002CA8: 7EE40327
	v_cvt_pkrtz_f16_f32 v39, v118, v119                        // 000000002CAC: D2960027 0002EF76
	v_mov_b32_e32 v115, v39                                    // 000000002CB4: 7EE60327
	buffer_load_dwordx4 a[204:207], v203, s[20:23], 0 offen    // 000000002CB8: E05C1000 8085CCCB
	buffer_load_dwordx4 a[208:211], v204, s[20:23], 0 offen    // 000000002CC0: E05C1000 8085D0CC
	ds_write_b64 v13, v[112:113] offset:4096                   // 000000002CC8: D89A1000 0000700D
	ds_write_b64 v13, v[114:115] offset:6144                   // 000000002CD0: D89A1800 0000720D
	buffer_load_dwordx4 a[212:215], v205, s[20:23], 0 offen    // 000000002CD8: E05C1000 8085D4CD
	s_waitcnt lgkmcnt(0)                                       // 000000002CE0: BF8CC07F
	s_barrier                                                  // 000000002CE4: BF8A0000
	ds_read_b64 v[112:113], v12 offset:4096                    // 000000002CE8: D8EC1000 7000000C
	ds_read_b64 v[114:115], v12 offset:4224                    // 000000002CF0: D8EC1080 7200000C
	ds_read_b64 v[116:117], v12 offset:5120                    // 000000002CF8: D8EC1400 7400000C
	ds_read_b64 v[118:119], v12 offset:5248                    // 000000002D00: D8EC1480 7600000C
	ds_read_b64 v[120:121], v12 offset:6144                    // 000000002D08: D8EC1800 7800000C
	ds_read_b64 v[122:123], v12 offset:6272                    // 000000002D10: D8EC1880 7A00000C
	ds_read_b64 v[124:125], v12 offset:7168                    // 000000002D18: D8EC1C00 7C00000C
	ds_read_b64 v[126:127], v12 offset:7296                    // 000000002D20: D8EC1C80 7E00000C
	buffer_load_dwordx4 a[216:219], v206, s[20:23], 0 offen    // 000000002D28: E05C1000 8085D8CE
	s_waitcnt lgkmcnt(0)                                       // 000000002D30: BF8CC07F
	v_mov_b32_dpp v128, v112 row_shl:8 row_mask:0xf bank_mask:0xf bound_ctrl:1// 000000002D34: 7F0002FA FF090870
	v_and_b32_e32 v112, v112, v9                               // 000000002D3C: 26E01370
	v_mov_b32_dpp v129, v113 row_shl:8 row_mask:0xf bank_mask:0xf bound_ctrl:1// 000000002D40: 7F0202FA FF090871
	v_and_b32_e32 v113, v113, v9                               // 000000002D48: 26E21371
	v_mov_b32_dpp v130, v114 row_shl:8 row_mask:0xf bank_mask:0xf bound_ctrl:1// 000000002D4C: 7F0402FA FF090872
	v_and_b32_e32 v114, v114, v9                               // 000000002D54: 26E41372
	v_mov_b32_dpp v131, v115 row_shl:8 row_mask:0xf bank_mask:0xf bound_ctrl:1// 000000002D58: 7F0602FA FF090873
	v_and_b32_e32 v115, v115, v9                               // 000000002D60: 26E61373
	v_mov_b32_dpp v132, v116 row_shl:8 row_mask:0xf bank_mask:0xf bound_ctrl:1// 000000002D64: 7F0802FA FF090874
	v_and_b32_e32 v116, v116, v9                               // 000000002D6C: 26E81374
	v_mov_b32_dpp v133, v117 row_shl:8 row_mask:0xf bank_mask:0xf bound_ctrl:1// 000000002D70: 7F0A02FA FF090875
	v_and_b32_e32 v117, v117, v9                               // 000000002D78: 26EA1375
	v_mov_b32_dpp v134, v118 row_shl:8 row_mask:0xf bank_mask:0xf bound_ctrl:1// 000000002D7C: 7F0C02FA FF090876
	v_and_b32_e32 v118, v118, v9                               // 000000002D84: 26EC1376
	v_mov_b32_dpp v135, v119 row_shl:8 row_mask:0xf bank_mask:0xf bound_ctrl:1// 000000002D88: 7F0E02FA FF090877
	v_and_b32_e32 v119, v119, v9                               // 000000002D90: 26EE1377
	v_mov_b32_dpp v136, v120 row_shl:8 row_mask:0xf bank_mask:0xf bound_ctrl:1// 000000002D94: 7F1002FA FF090878
	v_and_b32_e32 v120, v120, v9                               // 000000002D9C: 26F01378
	v_mov_b32_dpp v137, v121 row_shl:8 row_mask:0xf bank_mask:0xf bound_ctrl:1// 000000002DA0: 7F1202FA FF090879
	v_and_b32_e32 v121, v121, v9                               // 000000002DA8: 26F21379
	v_mov_b32_dpp v138, v122 row_shl:8 row_mask:0xf bank_mask:0xf bound_ctrl:1// 000000002DAC: 7F1402FA FF09087A
	v_and_b32_e32 v122, v122, v9                               // 000000002DB4: 26F4137A
	v_mov_b32_dpp v139, v123 row_shl:8 row_mask:0xf bank_mask:0xf bound_ctrl:1// 000000002DB8: 7F1602FA FF09087B
	v_and_b32_e32 v123, v123, v9                               // 000000002DC0: 26F6137B
	v_mov_b32_dpp v140, v124 row_shl:8 row_mask:0xf bank_mask:0xf bound_ctrl:1// 000000002DC4: 7F1802FA FF09087C
	v_and_b32_e32 v124, v124, v9                               // 000000002DCC: 26F8137C
	v_mov_b32_dpp v141, v125 row_shl:8 row_mask:0xf bank_mask:0xf bound_ctrl:1// 000000002DD0: 7F1A02FA FF09087D
	v_and_b32_e32 v125, v125, v9                               // 000000002DD8: 26FA137D
	v_mov_b32_dpp v142, v126 row_shl:8 row_mask:0xf bank_mask:0xf bound_ctrl:1// 000000002DDC: 7F1C02FA FF09087E
	v_and_b32_e32 v126, v126, v9                               // 000000002DE4: 26FC137E
	v_mov_b32_dpp v143, v127 row_shl:8 row_mask:0xf bank_mask:0xf bound_ctrl:1// 000000002DE8: 7F1E02FA FF09087F
	v_and_b32_e32 v127, v127, v9                               // 000000002DF0: 26FE137F
	buffer_load_dwordx4 a[220:223], v207, s[20:23], 0 offen    // 000000002DF4: E05C1000 8085DCCF
	v_mul_f32_e32 v176, v51, v176                              // 000000002DFC: 0B616133
	v_mul_f32_e32 v177, v51, v177                              // 000000002E00: 0B636333
	v_mul_f32_e32 v178, v51, v178                              // 000000002E04: 0B656533
	v_mul_f32_e32 v179, v51, v179                              // 000000002E08: 0B676733
	v_mul_f32_e32 v180, v51, v180                              // 000000002E0C: 0B696933
	v_mul_f32_e32 v181, v51, v181                              // 000000002E10: 0B6B6B33
	v_mul_f32_e32 v182, v51, v182                              // 000000002E14: 0B6D6D33
	v_mul_f32_e32 v183, v51, v183                              // 000000002E18: 0B6F6F33
	s_waitcnt vmcnt(24)                                        // 000000002E1C: BF8C4F78
	v_mfma_f32_16x16x16_f16 v[176:179], a[128:129], v[112:113], v[176:179]// 000000002E20: D3CD00B0 0EC2E180
	v_mfma_f32_16x16x16_f16 v[176:179], a[130:131], v[114:115], v[176:179]// 000000002E28: D3CD00B0 0EC2E582
	buffer_load_dwordx4 a[224:227], v200, s[20:23], 0 offen offset:1024// 000000002E30: E05C1400 8085E0C8
	v_mfma_f32_16x16x16_f16 v[176:179], a[132:133], v[116:117], v[176:179]// 000000002E38: D3CD00B0 0EC2E984
	v_mfma_f32_16x16x16_f16 v[176:179], a[134:135], v[118:119], v[176:179]// 000000002E40: D3CD00B0 0EC2ED86
	v_mfma_f32_16x16x16_f16 v[176:179], a[136:137], v[120:121], v[176:179]// 000000002E48: D3CD00B0 0EC2F188
	v_mfma_f32_16x16x16_f16 v[176:179], a[138:139], v[122:123], v[176:179]// 000000002E50: D3CD00B0 0EC2F58A
	buffer_load_dwordx4 a[228:231], v201, s[20:23], 0 offen offset:1024// 000000002E58: E05C1400 8085E4C9
	v_mfma_f32_16x16x16_f16 v[176:179], a[140:141], v[124:125], v[176:179]// 000000002E60: D3CD00B0 0EC2F98C
	v_mfma_f32_16x16x16_f16 v[176:179], a[142:143], v[126:127], v[176:179]// 000000002E68: D3CD00B0 0EC2FD8E
	v_mfma_f32_16x16x16_f16 v[176:179], a[144:145], v[128:129], v[176:179]// 000000002E70: D3CD00B0 0EC30190
	v_mfma_f32_16x16x16_f16 v[176:179], a[146:147], v[130:131], v[176:179]// 000000002E78: D3CD00B0 0EC30592
	buffer_load_dwordx4 a[232:235], v202, s[20:23], 0 offen offset:1024// 000000002E80: E05C1400 8085E8CA
	v_mfma_f32_16x16x16_f16 v[176:179], a[148:149], v[132:133], v[176:179]// 000000002E88: D3CD00B0 0EC30994
	v_mfma_f32_16x16x16_f16 v[176:179], a[150:151], v[134:135], v[176:179]// 000000002E90: D3CD00B0 0EC30D96
	v_mfma_f32_16x16x16_f16 v[176:179], a[152:153], v[136:137], v[176:179]// 000000002E98: D3CD00B0 0EC31198
	v_mfma_f32_16x16x16_f16 v[176:179], a[154:155], v[138:139], v[176:179]// 000000002EA0: D3CD00B0 0EC3159A
	buffer_load_dwordx4 a[236:239], v203, s[20:23], 0 offen offset:1024// 000000002EA8: E05C1400 8085ECCB
	v_mfma_f32_16x16x16_f16 v[176:179], a[156:157], v[140:141], v[176:179]// 000000002EB0: D3CD00B0 0EC3199C
	v_mfma_f32_16x16x16_f16 v[176:179], a[158:159], v[142:143], v[176:179]// 000000002EB8: D3CD00B0 0EC31D9E
	v_mfma_f32_16x16x16_f16 v[180:183], a[160:161], v[112:113], v[180:183]// 000000002EC0: D3CD00B4 0ED2E1A0
	v_mfma_f32_16x16x16_f16 v[180:183], a[162:163], v[114:115], v[180:183]// 000000002EC8: D3CD00B4 0ED2E5A2
	buffer_load_dwordx4 a[240:243], v204, s[20:23], 0 offen offset:1024// 000000002ED0: E05C1400 8085F0CC
	v_mfma_f32_16x16x16_f16 v[180:183], a[164:165], v[116:117], v[180:183]// 000000002ED8: D3CD00B4 0ED2E9A4
	v_mfma_f32_16x16x16_f16 v[180:183], a[166:167], v[118:119], v[180:183]// 000000002EE0: D3CD00B4 0ED2EDA6
	v_mfma_f32_16x16x16_f16 v[180:183], a[168:169], v[120:121], v[180:183]// 000000002EE8: D3CD00B4 0ED2F1A8
	v_mfma_f32_16x16x16_f16 v[180:183], a[170:171], v[122:123], v[180:183]// 000000002EF0: D3CD00B4 0ED2F5AA
	buffer_load_dwordx4 a[244:247], v205, s[20:23], 0 offen offset:1024// 000000002EF8: E05C1400 8085F4CD
	v_mfma_f32_16x16x16_f16 v[180:183], a[172:173], v[124:125], v[180:183]// 000000002F00: D3CD00B4 0ED2F9AC
	v_mfma_f32_16x16x16_f16 v[180:183], a[174:175], v[126:127], v[180:183]// 000000002F08: D3CD00B4 0ED2FDAE
	v_mfma_f32_16x16x16_f16 v[180:183], a[176:177], v[128:129], v[180:183]// 000000002F10: D3CD00B4 0ED301B0
	v_mfma_f32_16x16x16_f16 v[180:183], a[178:179], v[130:131], v[180:183]// 000000002F18: D3CD00B4 0ED305B2
	buffer_load_dwordx4 a[248:251], v206, s[20:23], 0 offen offset:1024// 000000002F20: E05C1400 8085F8CE
	v_mfma_f32_16x16x16_f16 v[180:183], a[180:181], v[132:133], v[180:183]// 000000002F28: D3CD00B4 0ED309B4
	v_mfma_f32_16x16x16_f16 v[180:183], a[182:183], v[134:135], v[180:183]// 000000002F30: D3CD00B4 0ED30DB6
	v_mfma_f32_16x16x16_f16 v[180:183], a[184:185], v[136:137], v[180:183]// 000000002F38: D3CD00B4 0ED311B8
	v_mfma_f32_16x16x16_f16 v[180:183], a[186:187], v[138:139], v[180:183]// 000000002F40: D3CD00B4 0ED315BA
	buffer_load_dwordx4 a[252:255], v207, s[20:23], 0 offen offset:1024// 000000002F48: E05C1400 8085FCCF
	v_mfma_f32_16x16x16_f16 v[180:183], a[188:189], v[140:141], v[180:183]// 000000002F50: D3CD00B4 0ED319BC
	v_mfma_f32_16x16x16_f16 v[180:183], a[190:191], v[142:143], v[180:183]// 000000002F58: D3CD00B4 0ED31DBE
	s_lshr_b32 s60, s70, 4                                     // 000000002F60: 8F3C8446
	s_add_u32 s60, 48, s60                                     // 000000002F64: 803C3CB0
	s_cmp_ge_u32 s60, s73                                      // 000000002F68: BF09493C
	s_cselect_b32 s56, 0, s56                                  // 000000002F6C: 85383880
	v_mul_u32_u24_dpp v39, v17, v54 row_newbcast:0 row_mask:0xf bank_mask:0xf// 000000002F70: 104E6CFA FF015011
	v_mul_u32_u24_dpp v40, v17, v54 row_newbcast:4 row_mask:0xf bank_mask:0xf// 000000002F78: 10506CFA FF015411
	v_mul_u32_u24_dpp v41, v17, v54 row_newbcast:8 row_mask:0xf bank_mask:0xf// 000000002F80: 10526CFA FF015811
	v_mul_u32_u24_dpp v42, v17, v54 row_newbcast:12 row_mask:0xf bank_mask:0xf// 000000002F88: 10546CFA FF015C11
	v_add_u32_e32 v23, v39, v6                                 // 000000002F90: 682E0D27
	v_add_u32_e32 v24, v40, v6                                 // 000000002F94: 68300D28
	v_add_u32_e32 v25, v41, v6                                 // 000000002F98: 68320D29
	v_add_u32_e32 v26, v42, v6                                 // 000000002F9C: 68340D2A
	v_mul_u32_u24_dpp v39, v17, v54 row_newbcast:1 row_mask:0xf bank_mask:0xf// 000000002FA0: 104E6CFA FF015111
	v_mul_u32_u24_dpp v40, v17, v54 row_newbcast:2 row_mask:0xf bank_mask:0xf// 000000002FA8: 10506CFA FF015211
	v_mul_u32_u24_dpp v41, v17, v54 row_newbcast:5 row_mask:0xf bank_mask:0xf// 000000002FB0: 10526CFA FF015511
	v_mul_u32_u24_dpp v42, v17, v54 row_newbcast:6 row_mask:0xf bank_mask:0xf// 000000002FB8: 10546CFA FF015611
	v_add_u32_e32 v192, v39, v7                                // 000000002FC0: 69800F27
	v_add_u32_e32 v193, v40, v7                                // 000000002FC4: 69820F28
	v_add_u32_e32 v194, v41, v7                                // 000000002FC8: 69840F29
	v_add_u32_e32 v195, v42, v7                                // 000000002FCC: 69860F2A
	v_mul_u32_u24_dpp v39, v17, v54 row_newbcast:9 row_mask:0xf bank_mask:0xf// 000000002FD0: 104E6CFA FF015911
	v_mul_u32_u24_dpp v40, v17, v54 row_newbcast:10 row_mask:0xf bank_mask:0xf// 000000002FD8: 10506CFA FF015A11
	v_mul_u32_u24_dpp v41, v17, v54 row_newbcast:13 row_mask:0xf bank_mask:0xf// 000000002FE0: 10526CFA FF015D11
	v_mul_u32_u24_dpp v42, v17, v54 row_newbcast:7 row_mask:0xf bank_mask:0xf// 000000002FE8: 10546CFA FF015711
	v_add_u32_e32 v196, v39, v7                                // 000000002FF0: 69880F27
	v_add_u32_e32 v197, v40, v7                                // 000000002FF4: 698A0F28
	v_add_u32_e32 v198, v41, v7                                // 000000002FF8: 698C0F29
	v_add_u32_e32 v199, v42, v7                                // 000000002FFC: 698E0F2A
	v_add_u32_e32 v1, s56, v1                                  // 000000003000: 68020238
	s_addk_i32 s70, 0x100                                      // 000000003004: B7460100
	s_cmp_lt_i32 s70, s71                                      // 000000003008: BF044746
	s_cbranch_scc0 label_054F                                  // 00000000300C: BF8401CB
	s_waitcnt vmcnt(16) lgkmcnt(0)                             // 000000003010: BF8C4070
	v_mfma_f32_16x16x16_f16 v[112:115], a[64:65], v[80:81], 0  // 000000003014: D3CD0070 0A02A140
	v_mfma_f32_16x16x16_f16 v[112:115], a[66:67], v[82:83], v[112:115]// 00000000301C: D3CD0070 0DC2A542
	buffer_load_dwordx4 a[0:3], v23, s[16:19], 0 offen         // 000000003024: E05C1000 80840017
	v_mfma_f32_16x16x16_f16 v[112:115], a[68:69], v[84:85], v[112:115]// 00000000302C: D3CD0070 0DC2A944
	v_mfma_f32_16x16x16_f16 v[112:115], a[70:71], v[86:87], v[112:115]// 000000003034: D3CD0070 0DC2AD46
	buffer_load_dword v18, v1, s[24:27], 0 offen               // 00000000303C: E0501000 80061201
	v_mfma_f32_16x16x16_f16 v[112:115], a[72:73], v[88:89], v[112:115]// 000000003044: D3CD0070 0DC2B148
	v_mfma_f32_16x16x16_f16 v[112:115], a[74:75], v[90:91], v[112:115]// 00000000304C: D3CD0070 0DC2B54A
	buffer_load_dwordx4 a[4:7], v23, s[16:19], 0 offen offset:1024// 000000003054: E05C1400 80840417
	v_mfma_f32_16x16x16_f16 v[112:115], a[76:77], v[92:93], v[112:115]// 00000000305C: D3CD0070 0DC2B94C
	v_mfma_f32_16x16x16_f16 v[112:115], a[78:79], v[94:95], v[112:115]// 000000003064: D3CD0070 0DC2BD4E
	v_mfma_f32_16x16x16_f16 v[116:119], a[80:81], v[80:81], 0  // 00000000306C: D3CD0074 0A02A150
	v_mfma_f32_16x16x16_f16 v[116:119], a[82:83], v[82:83], v[116:119]// 000000003074: D3CD0074 0DD2A552
	buffer_load_dwordx4 a[8:11], v23, s[16:19], 0 offen offset:2048// 00000000307C: E05C1800 80840817
	v_mfma_f32_16x16x16_f16 v[116:119], a[84:85], v[84:85], v[116:119]// 000000003084: D3CD0074 0DD2A954
	v_mfma_f32_16x16x16_f16 v[116:119], a[86:87], v[86:87], v[116:119]// 00000000308C: D3CD0074 0DD2AD56
	v_mfma_f32_16x16x16_f16 v[116:119], a[88:89], v[88:89], v[116:119]// 000000003094: D3CD0074 0DD2B158
	v_mfma_f32_16x16x16_f16 v[116:119], a[90:91], v[90:91], v[116:119]// 00000000309C: D3CD0074 0DD2B55A
	buffer_load_dwordx4 a[12:15], v23, s[16:19], 0 offen offset:3072// 0000000030A4: E05C1C00 80840C17
	v_mfma_f32_16x16x16_f16 v[116:119], a[92:93], v[92:93], v[116:119]// 0000000030AC: D3CD0074 0DD2B95C
	v_mfma_f32_16x16x16_f16 v[116:119], a[94:95], v[94:95], v[116:119]// 0000000030B4: D3CD0074 0DD2BD5E
	v_mfma_f32_16x16x16_f16 v[120:123], a[96:97], v[80:81], 0  // 0000000030BC: D3CD0078 0A02A160
	v_mfma_f32_16x16x16_f16 v[120:123], a[98:99], v[82:83], v[120:123]// 0000000030C4: D3CD0078 0DE2A562
	buffer_load_dwordx4 a[16:19], v24, s[16:19], 0 offen       // 0000000030CC: E05C1000 80841018
	v_mfma_f32_16x16x16_f16 v[120:123], a[100:101], v[84:85], v[120:123]// 0000000030D4: D3CD0078 0DE2A964
	v_mfma_f32_16x16x16_f16 v[120:123], a[102:103], v[86:87], v[120:123]// 0000000030DC: D3CD0078 0DE2AD66
	v_mfma_f32_16x16x16_f16 v[120:123], a[104:105], v[88:89], v[120:123]// 0000000030E4: D3CD0078 0DE2B168
	v_mfma_f32_16x16x16_f16 v[120:123], a[106:107], v[90:91], v[120:123]// 0000000030EC: D3CD0078 0DE2B56A
	buffer_load_dwordx4 a[20:23], v24, s[16:19], 0 offen offset:1024// 0000000030F4: E05C1400 80841418
	v_mfma_f32_16x16x16_f16 v[120:123], a[108:109], v[92:93], v[120:123]// 0000000030FC: D3CD0078 0DE2B96C
	v_mfma_f32_16x16x16_f16 v[120:123], a[110:111], v[94:95], v[120:123]// 000000003104: D3CD0078 0DE2BD6E
	v_mfma_f32_16x16x16_f16 v[124:127], a[112:113], v[80:81], 0// 00000000310C: D3CD007C 0A02A170
	v_mfma_f32_16x16x16_f16 v[124:127], a[114:115], v[82:83], v[124:127]// 000000003114: D3CD007C 0DF2A572
	buffer_load_dwordx4 a[24:27], v24, s[16:19], 0 offen offset:2048// 00000000311C: E05C1800 80841818
	v_mfma_f32_16x16x16_f16 v[124:127], a[116:117], v[84:85], v[124:127]// 000000003124: D3CD007C 0DF2A974
	v_mfma_f32_16x16x16_f16 v[124:127], a[118:119], v[86:87], v[124:127]// 00000000312C: D3CD007C 0DF2AD76
	v_mfma_f32_16x16x16_f16 v[124:127], a[120:121], v[88:89], v[124:127]// 000000003134: D3CD007C 0DF2B178
	v_mfma_f32_16x16x16_f16 v[124:127], a[122:123], v[90:91], v[124:127]// 00000000313C: D3CD007C 0DF2B57A
	buffer_load_dwordx4 a[28:31], v24, s[16:19], 0 offen offset:3072// 000000003144: E05C1C00 80841C18
	v_mfma_f32_16x16x16_f16 v[124:127], a[124:125], v[92:93], v[124:127]// 00000000314C: D3CD007C 0DF2B97C
	v_mfma_f32_16x16x16_f16 v[124:127], a[126:127], v[94:95], v[124:127]// 000000003154: D3CD007C 0DF2BD7E
	buffer_load_dwordx4 a[32:35], v25, s[16:19], 0 offen       // 00000000315C: E05C1000 80842019
	s_nop 8                                                    // 000000003164: BF800008
	v_or_b32_dpp v112, v120, v112 row_shr:8 row_mask:0xf bank_mask:0xf bound_ctrl:1// 000000003168: 28E0E0FA FF091878
	v_or_b32_dpp v113, v121, v113 row_shr:8 row_mask:0xf bank_mask:0xf bound_ctrl:1// 000000003170: 28E2E2FA FF091879
	v_or_b32_dpp v114, v122, v114 row_shr:8 row_mask:0xf bank_mask:0xf bound_ctrl:1// 000000003178: 28E4E4FA FF09187A
	v_or_b32_dpp v115, v123, v115 row_shr:8 row_mask:0xf bank_mask:0xf bound_ctrl:1// 000000003180: 28E6E6FA FF09187B
	v_or_b32_dpp v116, v124, v116 row_shr:8 row_mask:0xf bank_mask:0xf bound_ctrl:1// 000000003188: 28E8E8FA FF09187C
	v_or_b32_dpp v117, v125, v117 row_shr:8 row_mask:0xf bank_mask:0xf bound_ctrl:1// 000000003190: 28EAEAFA FF09187D
	v_or_b32_dpp v118, v126, v118 row_shr:8 row_mask:0xf bank_mask:0xf bound_ctrl:1// 000000003198: 28ECECFA FF09187E
	v_or_b32_dpp v119, v127, v119 row_shr:8 row_mask:0xf bank_mask:0xf bound_ctrl:1// 0000000031A0: 28EEEEFA FF09187F
	buffer_load_dwordx4 a[36:39], v25, s[16:19], 0 offen offset:1024// 0000000031A8: E05C1400 80842419
	v_mov_b32_e32 v50, v112                                    // 0000000031B0: 7E640370
	v_max3_f32 v50, v112, v113, v50                            // 0000000031B4: D1D30032 04CAE370
	v_max3_f32 v50, v114, v115, v50                            // 0000000031BC: D1D30032 04CAE772
	v_max3_f32 v50, v116, v117, v50                            // 0000000031C4: D1D30032 04CAEB74
	v_max3_f32 v50, v118, v119, v50                            // 0000000031CC: D1D30032 04CAEF76
	ds_write_b32 v11, v50                                      // 0000000031D4: D81A0000 0000320B
	buffer_load_dwordx4 a[40:43], v25, s[16:19], 0 offen offset:2048// 0000000031DC: E05C1800 80842819
	s_waitcnt lgkmcnt(0)                                       // 0000000031E4: BF8CC07F
	s_barrier                                                  // 0000000031E8: BF8A0000
	ds_read_b32 v64, v10                                       // 0000000031EC: D86C0000 4000000A
	buffer_load_dwordx4 a[44:47], v25, s[16:19], 0 offen offset:3072// 0000000031F4: E05C1C00 80842C19
	ds_read_b32 v65, v10 offset:64                             // 0000000031FC: D86C0040 4100000A
	ds_read_b32 v66, v10 offset:128                            // 000000003204: D86C0080 4200000A
	ds_read_b32 v67, v10 offset:192                            // 00000000320C: D86C00C0 4300000A
	ds_read_b32 v68, v10 offset:256                            // 000000003214: D86C0100 4400000A
	ds_read_b32 v69, v10 offset:320                            // 00000000321C: D86C0140 4500000A
	ds_read_b32 v70, v10 offset:384                            // 000000003224: D86C0180 4600000A
	ds_read_b32 v71, v10 offset:448                            // 00000000322C: D86C01C0 4700000A
	ds_read_b32 v72, v10 offset:512                            // 000000003234: D86C0200 4800000A
	buffer_load_dwordx4 a[48:51], v26, s[16:19], 0 offen       // 00000000323C: E05C1000 8084301A
	ds_read_b32 v73, v10 offset:576                            // 000000003244: D86C0240 4900000A
	ds_read_b32 v74, v10 offset:640                            // 00000000324C: D86C0280 4A00000A
	ds_read_b32 v75, v10 offset:704                            // 000000003254: D86C02C0 4B00000A
	ds_read_b32 v76, v10 offset:768                            // 00000000325C: D86C0300 4C00000A
	ds_read_b32 v77, v10 offset:832                            // 000000003264: D86C0340 4D00000A
	ds_read_b32 v78, v10 offset:896                            // 00000000326C: D86C0380 4E00000A
	ds_read_b32 v79, v10 offset:960                            // 000000003274: D86C03C0 4F00000A
	buffer_load_dwordx4 a[52:55], v26, s[16:19], 0 offen offset:1024// 00000000327C: E05C1400 8084341A
	buffer_load_dwordx4 a[56:59], v26, s[16:19], 0 offen offset:2048// 000000003284: E05C1800 8084381A
	s_waitcnt lgkmcnt(0)                                       // 00000000328C: BF8CC07F
	v_max3_f32 v50, v64, v65, v50                              // 000000003290: D1D30032 04CA8340
	v_max3_f32 v50, v66, v67, v50                              // 000000003298: D1D30032 04CA8742
	v_max3_f32 v50, v68, v69, v50                              // 0000000032A0: D1D30032 04CA8B44
	v_max3_f32 v50, v70, v71, v50                              // 0000000032A8: D1D30032 04CA8F46
	v_max3_f32 v50, v72, v73, v50                              // 0000000032B0: D1D30032 04CA9348
	v_max3_f32 v50, v74, v75, v50                              // 0000000032B8: D1D30032 04CA974A
	v_max3_f32 v50, v76, v77, v50                              // 0000000032C0: D1D30032 04CA9B4C
	v_max3_f32 v50, v78, v79, v50                              // 0000000032C8: D1D30032 04CA9F4E
	buffer_load_dwordx4 a[60:63], v26, s[16:19], 0 offen offset:3072// 0000000032D0: E05C1C00 80843C1A
	v_cmp_eq_u32_e64 s[40:41], v55, v14                        // 0000000032D8: D0CA0028 00021D37
	s_nop 1                                                    // 0000000032E0: BF800001
	v_mov_b32_dpp v39, v50 row_ror:8 row_mask:0xf bank_mask:0xf// 0000000032E4: 7E4E02FA FF012832
	v_max_f32_e32 v50, v50, v39                                // 0000000032EC: 16644F32
	v_max_f32_e32 v16, v50, v14                                // 0000000032F0: 16201D32
	v_sub_f32_e32 v51, v14, v16                                // 0000000032F4: 0466210E
	v_cndmask_b32_e64 v51, v51, 0, s[40:41]                    // 0000000032F8: D1000033 00A10133
	v_mov_b32_e32 v14, v16                                     // 000000003300: 7E1C0310
	v_mul_f32_e32 v53, s64, v16                                // 000000003304: 0A6A2040
	v_mul_f32_e32 v51, s64, v51                                // 000000003308: 0A666640
	v_exp_f32_e32 v51, v51                                     // 00000000330C: 7E664133
	buffer_load_dwordx4 a[128:131], v192, s[20:23], 0 offen    // 000000003310: E05C1000 808580C0
	v_fma_f32 v112, v112, s64, -v53                            // 000000003318: D1CB0070 84D48170
	v_fma_f32 v113, v113, s64, -v53                            // 000000003320: D1CB0071 84D48171
	v_fma_f32 v114, v114, s64, -v53                            // 000000003328: D1CB0072 84D48172
	v_fma_f32 v115, v115, s64, -v53                            // 000000003330: D1CB0073 84D48173
	v_fma_f32 v116, v116, s64, -v53                            // 000000003338: D1CB0074 84D48174
	v_fma_f32 v117, v117, s64, -v53                            // 000000003340: D1CB0075 84D48175
	v_fma_f32 v118, v118, s64, -v53                            // 000000003348: D1CB0076 84D48176
	v_fma_f32 v119, v119, s64, -v53                            // 000000003350: D1CB0077 84D48177
	v_exp_f32_e32 v112, v112                                   // 000000003358: 7EE04170
	v_exp_f32_e32 v113, v113                                   // 00000000335C: 7EE24171
	v_exp_f32_e32 v114, v114                                   // 000000003360: 7EE44172
	v_exp_f32_e32 v115, v115                                   // 000000003364: 7EE64173
	v_exp_f32_e32 v116, v116                                   // 000000003368: 7EE84174
	v_exp_f32_e32 v117, v117                                   // 00000000336C: 7EEA4175
	v_exp_f32_e32 v118, v118                                   // 000000003370: 7EEC4176
	v_exp_f32_e32 v119, v119                                   // 000000003374: 7EEE4177
	buffer_load_dwordx4 a[132:135], v193, s[20:23], 0 offen    // 000000003378: E05C1000 808584C1
	v_mul_f32_e32 v43, v51, v43                                // 000000003380: 0A565733
	v_mov_b32_e32 v45, v112                                    // 000000003384: 7E5A0370
	v_add_f32_e32 v45, v113, v45                               // 000000003388: 025A5B71
	v_add_f32_e32 v45, v114, v45                               // 00000000338C: 025A5B72
	v_add_f32_e32 v45, v115, v45                               // 000000003390: 025A5B73
	v_add_f32_e32 v45, v116, v45                               // 000000003394: 025A5B74
	v_add_f32_e32 v45, v117, v45                               // 000000003398: 025A5B75
	v_add_f32_e32 v45, v118, v45                               // 00000000339C: 025A5B76
	v_add_f32_e32 v45, v119, v45                               // 0000000033A0: 025A5B77
	v_add_f32_e32 v43, v45, v43                                // 0000000033A4: 0256572D
	buffer_load_dwordx4 a[136:139], v194, s[20:23], 0 offen    // 0000000033A8: E05C1000 808588C2
	v_cvt_pkrtz_f16_f32 v39, v112, v113                        // 0000000033B0: D2960027 0002E370
	v_mov_b32_e32 v112, v39                                    // 0000000033B8: 7EE00327
	v_cvt_pkrtz_f16_f32 v39, v114, v115                        // 0000000033BC: D2960027 0002E772
	v_mov_b32_e32 v113, v39                                    // 0000000033C4: 7EE20327
	v_cvt_pkrtz_f16_f32 v39, v116, v117                        // 0000000033C8: D2960027 0002EB74
	v_mov_b32_e32 v114, v39                                    // 0000000033D0: 7EE40327
	v_cvt_pkrtz_f16_f32 v39, v118, v119                        // 0000000033D4: D2960027 0002EF76
	v_mov_b32_e32 v115, v39                                    // 0000000033DC: 7EE60327
	buffer_load_dwordx4 a[140:143], v195, s[20:23], 0 offen    // 0000000033E0: E05C1000 80858CC3
	buffer_load_dwordx4 a[144:147], v196, s[20:23], 0 offen    // 0000000033E8: E05C1000 808590C4
	ds_write_b64 v13, v[112:113] offset:4096                   // 0000000033F0: D89A1000 0000700D
	ds_write_b64 v13, v[114:115] offset:6144                   // 0000000033F8: D89A1800 0000720D
	buffer_load_dwordx4 a[148:151], v197, s[20:23], 0 offen    // 000000003400: E05C1000 808594C5
	s_waitcnt lgkmcnt(0)                                       // 000000003408: BF8CC07F
	s_barrier                                                  // 00000000340C: BF8A0000
	ds_read_b64 v[112:113], v12 offset:4096                    // 000000003410: D8EC1000 7000000C
	ds_read_b64 v[114:115], v12 offset:4224                    // 000000003418: D8EC1080 7200000C
	ds_read_b64 v[116:117], v12 offset:5120                    // 000000003420: D8EC1400 7400000C
	ds_read_b64 v[118:119], v12 offset:5248                    // 000000003428: D8EC1480 7600000C
	ds_read_b64 v[120:121], v12 offset:6144                    // 000000003430: D8EC1800 7800000C
	ds_read_b64 v[122:123], v12 offset:6272                    // 000000003438: D8EC1880 7A00000C
	ds_read_b64 v[124:125], v12 offset:7168                    // 000000003440: D8EC1C00 7C00000C
	ds_read_b64 v[126:127], v12 offset:7296                    // 000000003448: D8EC1C80 7E00000C
	buffer_load_dwordx4 a[152:155], v198, s[20:23], 0 offen    // 000000003450: E05C1000 808598C6
	s_waitcnt lgkmcnt(0)                                       // 000000003458: BF8CC07F
	v_mov_b32_dpp v128, v112 row_shl:8 row_mask:0xf bank_mask:0xf bound_ctrl:1// 00000000345C: 7F0002FA FF090870
	v_and_b32_e32 v112, v112, v9                               // 000000003464: 26E01370
	v_mov_b32_dpp v129, v113 row_shl:8 row_mask:0xf bank_mask:0xf bound_ctrl:1// 000000003468: 7F0202FA FF090871
	v_and_b32_e32 v113, v113, v9                               // 000000003470: 26E21371
	v_mov_b32_dpp v130, v114 row_shl:8 row_mask:0xf bank_mask:0xf bound_ctrl:1// 000000003474: 7F0402FA FF090872
	v_and_b32_e32 v114, v114, v9                               // 00000000347C: 26E41372
	v_mov_b32_dpp v131, v115 row_shl:8 row_mask:0xf bank_mask:0xf bound_ctrl:1// 000000003480: 7F0602FA FF090873
	v_and_b32_e32 v115, v115, v9                               // 000000003488: 26E61373
	v_mov_b32_dpp v132, v116 row_shl:8 row_mask:0xf bank_mask:0xf bound_ctrl:1// 00000000348C: 7F0802FA FF090874
	v_and_b32_e32 v116, v116, v9                               // 000000003494: 26E81374
	v_mov_b32_dpp v133, v117 row_shl:8 row_mask:0xf bank_mask:0xf bound_ctrl:1// 000000003498: 7F0A02FA FF090875
	v_and_b32_e32 v117, v117, v9                               // 0000000034A0: 26EA1375
	v_mov_b32_dpp v134, v118 row_shl:8 row_mask:0xf bank_mask:0xf bound_ctrl:1// 0000000034A4: 7F0C02FA FF090876
	v_and_b32_e32 v118, v118, v9                               // 0000000034AC: 26EC1376
	v_mov_b32_dpp v135, v119 row_shl:8 row_mask:0xf bank_mask:0xf bound_ctrl:1// 0000000034B0: 7F0E02FA FF090877
	v_and_b32_e32 v119, v119, v9                               // 0000000034B8: 26EE1377
	v_mov_b32_dpp v136, v120 row_shl:8 row_mask:0xf bank_mask:0xf bound_ctrl:1// 0000000034BC: 7F1002FA FF090878
	v_and_b32_e32 v120, v120, v9                               // 0000000034C4: 26F01378
	v_mov_b32_dpp v137, v121 row_shl:8 row_mask:0xf bank_mask:0xf bound_ctrl:1// 0000000034C8: 7F1202FA FF090879
	v_and_b32_e32 v121, v121, v9                               // 0000000034D0: 26F21379
	v_mov_b32_dpp v138, v122 row_shl:8 row_mask:0xf bank_mask:0xf bound_ctrl:1// 0000000034D4: 7F1402FA FF09087A
	v_and_b32_e32 v122, v122, v9                               // 0000000034DC: 26F4137A
	v_mov_b32_dpp v139, v123 row_shl:8 row_mask:0xf bank_mask:0xf bound_ctrl:1// 0000000034E0: 7F1602FA FF09087B
	v_and_b32_e32 v123, v123, v9                               // 0000000034E8: 26F6137B
	v_mov_b32_dpp v140, v124 row_shl:8 row_mask:0xf bank_mask:0xf bound_ctrl:1// 0000000034EC: 7F1802FA FF09087C
	v_and_b32_e32 v124, v124, v9                               // 0000000034F4: 26F8137C
	v_mov_b32_dpp v141, v125 row_shl:8 row_mask:0xf bank_mask:0xf bound_ctrl:1// 0000000034F8: 7F1A02FA FF09087D
	v_and_b32_e32 v125, v125, v9                               // 000000003500: 26FA137D
	v_mov_b32_dpp v142, v126 row_shl:8 row_mask:0xf bank_mask:0xf bound_ctrl:1// 000000003504: 7F1C02FA FF09087E
	v_and_b32_e32 v126, v126, v9                               // 00000000350C: 26FC137E
	v_mov_b32_dpp v143, v127 row_shl:8 row_mask:0xf bank_mask:0xf bound_ctrl:1// 000000003510: 7F1E02FA FF09087F
	v_and_b32_e32 v127, v127, v9                               // 000000003518: 26FE137F
	buffer_load_dwordx4 a[156:159], v199, s[20:23], 0 offen    // 00000000351C: E05C1000 80859CC7
	v_mul_f32_e32 v176, v51, v176                              // 000000003524: 0B616133
	v_mul_f32_e32 v177, v51, v177                              // 000000003528: 0B636333
	v_mul_f32_e32 v178, v51, v178                              // 00000000352C: 0B656533
	v_mul_f32_e32 v179, v51, v179                              // 000000003530: 0B676733
	v_mul_f32_e32 v180, v51, v180                              // 000000003534: 0B696933
	v_mul_f32_e32 v181, v51, v181                              // 000000003538: 0B6B6B33
	v_mul_f32_e32 v182, v51, v182                              // 00000000353C: 0B6D6D33
	v_mul_f32_e32 v183, v51, v183                              // 000000003540: 0B6F6F33
	s_waitcnt vmcnt(24)                                        // 000000003544: BF8C4F78
	v_mfma_f32_16x16x16_f16 v[176:179], a[192:193], v[112:113], v[176:179]// 000000003548: D3CD00B0 0EC2E1C0
	v_mfma_f32_16x16x16_f16 v[176:179], a[194:195], v[114:115], v[176:179]// 000000003550: D3CD00B0 0EC2E5C2
	buffer_load_dwordx4 a[160:163], v192, s[20:23], 0 offen offset:1024// 000000003558: E05C1400 8085A0C0
	v_mfma_f32_16x16x16_f16 v[176:179], a[196:197], v[116:117], v[176:179]// 000000003560: D3CD00B0 0EC2E9C4
	v_mfma_f32_16x16x16_f16 v[176:179], a[198:199], v[118:119], v[176:179]// 000000003568: D3CD00B0 0EC2EDC6
	v_mfma_f32_16x16x16_f16 v[176:179], a[200:201], v[120:121], v[176:179]// 000000003570: D3CD00B0 0EC2F1C8
	v_mfma_f32_16x16x16_f16 v[176:179], a[202:203], v[122:123], v[176:179]// 000000003578: D3CD00B0 0EC2F5CA
	buffer_load_dwordx4 a[164:167], v193, s[20:23], 0 offen offset:1024// 000000003580: E05C1400 8085A4C1
	v_mfma_f32_16x16x16_f16 v[176:179], a[204:205], v[124:125], v[176:179]// 000000003588: D3CD00B0 0EC2F9CC
	v_mfma_f32_16x16x16_f16 v[176:179], a[206:207], v[126:127], v[176:179]// 000000003590: D3CD00B0 0EC2FDCE
	v_mfma_f32_16x16x16_f16 v[176:179], a[208:209], v[128:129], v[176:179]// 000000003598: D3CD00B0 0EC301D0
	v_mfma_f32_16x16x16_f16 v[176:179], a[210:211], v[130:131], v[176:179]// 0000000035A0: D3CD00B0 0EC305D2
	buffer_load_dwordx4 a[168:171], v194, s[20:23], 0 offen offset:1024// 0000000035A8: E05C1400 8085A8C2
	v_mfma_f32_16x16x16_f16 v[176:179], a[212:213], v[132:133], v[176:179]// 0000000035B0: D3CD00B0 0EC309D4
	v_mfma_f32_16x16x16_f16 v[176:179], a[214:215], v[134:135], v[176:179]// 0000000035B8: D3CD00B0 0EC30DD6
	v_mfma_f32_16x16x16_f16 v[176:179], a[216:217], v[136:137], v[176:179]// 0000000035C0: D3CD00B0 0EC311D8
	v_mfma_f32_16x16x16_f16 v[176:179], a[218:219], v[138:139], v[176:179]// 0000000035C8: D3CD00B0 0EC315DA
	buffer_load_dwordx4 a[172:175], v195, s[20:23], 0 offen offset:1024// 0000000035D0: E05C1400 8085ACC3
	v_mfma_f32_16x16x16_f16 v[176:179], a[220:221], v[140:141], v[176:179]// 0000000035D8: D3CD00B0 0EC319DC
	v_mfma_f32_16x16x16_f16 v[176:179], a[222:223], v[142:143], v[176:179]// 0000000035E0: D3CD00B0 0EC31DDE
	v_mfma_f32_16x16x16_f16 v[180:183], a[224:225], v[112:113], v[180:183]// 0000000035E8: D3CD00B4 0ED2E1E0
	v_mfma_f32_16x16x16_f16 v[180:183], a[226:227], v[114:115], v[180:183]// 0000000035F0: D3CD00B4 0ED2E5E2
	buffer_load_dwordx4 a[176:179], v196, s[20:23], 0 offen offset:1024// 0000000035F8: E05C1400 8085B0C4
	v_mfma_f32_16x16x16_f16 v[180:183], a[228:229], v[116:117], v[180:183]// 000000003600: D3CD00B4 0ED2E9E4
	v_mfma_f32_16x16x16_f16 v[180:183], a[230:231], v[118:119], v[180:183]// 000000003608: D3CD00B4 0ED2EDE6
	v_mfma_f32_16x16x16_f16 v[180:183], a[232:233], v[120:121], v[180:183]// 000000003610: D3CD00B4 0ED2F1E8
	v_mfma_f32_16x16x16_f16 v[180:183], a[234:235], v[122:123], v[180:183]// 000000003618: D3CD00B4 0ED2F5EA
	buffer_load_dwordx4 a[180:183], v197, s[20:23], 0 offen offset:1024// 000000003620: E05C1400 8085B4C5
	v_mfma_f32_16x16x16_f16 v[180:183], a[236:237], v[124:125], v[180:183]// 000000003628: D3CD00B4 0ED2F9EC
	v_mfma_f32_16x16x16_f16 v[180:183], a[238:239], v[126:127], v[180:183]// 000000003630: D3CD00B4 0ED2FDEE
	v_mfma_f32_16x16x16_f16 v[180:183], a[240:241], v[128:129], v[180:183]// 000000003638: D3CD00B4 0ED301F0
	v_mfma_f32_16x16x16_f16 v[180:183], a[242:243], v[130:131], v[180:183]// 000000003640: D3CD00B4 0ED305F2
	buffer_load_dwordx4 a[184:187], v198, s[20:23], 0 offen offset:1024// 000000003648: E05C1400 8085B8C6
	v_mfma_f32_16x16x16_f16 v[180:183], a[244:245], v[132:133], v[180:183]// 000000003650: D3CD00B4 0ED309F4
	v_mfma_f32_16x16x16_f16 v[180:183], a[246:247], v[134:135], v[180:183]// 000000003658: D3CD00B4 0ED30DF6
	v_mfma_f32_16x16x16_f16 v[180:183], a[248:249], v[136:137], v[180:183]// 000000003660: D3CD00B4 0ED311F8
	v_mfma_f32_16x16x16_f16 v[180:183], a[250:251], v[138:139], v[180:183]// 000000003668: D3CD00B4 0ED315FA
	buffer_load_dwordx4 a[188:191], v199, s[20:23], 0 offen offset:1024// 000000003670: E05C1400 8085BCC7
	v_mfma_f32_16x16x16_f16 v[180:183], a[252:253], v[140:141], v[180:183]// 000000003678: D3CD00B4 0ED319FC
	v_mfma_f32_16x16x16_f16 v[180:183], a[254:255], v[142:143], v[180:183]// 000000003680: D3CD00B4 0ED31DFE
	s_lshr_b32 s60, s70, 4                                     // 000000003688: 8F3C8446
	s_add_u32 s60, 48, s60                                     // 00000000368C: 803C3CB0
	s_cmp_ge_u32 s60, s73                                      // 000000003690: BF09493C
	s_cselect_b32 s56, 0, s56                                  // 000000003694: 85383880
	v_mul_u32_u24_dpp v39, v18, v54 row_newbcast:0 row_mask:0xf bank_mask:0xf// 000000003698: 104E6CFA FF015012
	v_mul_u32_u24_dpp v40, v18, v54 row_newbcast:4 row_mask:0xf bank_mask:0xf// 0000000036A0: 10506CFA FF015412
	v_mul_u32_u24_dpp v41, v18, v54 row_newbcast:8 row_mask:0xf bank_mask:0xf// 0000000036A8: 10526CFA FF015812
	v_mul_u32_u24_dpp v42, v18, v54 row_newbcast:12 row_mask:0xf bank_mask:0xf// 0000000036B0: 10546CFA FF015C12
	v_add_u32_e32 v27, v39, v6                                 // 0000000036B8: 68360D27
	v_add_u32_e32 v28, v40, v6                                 // 0000000036BC: 68380D28
	v_add_u32_e32 v29, v41, v6                                 // 0000000036C0: 683A0D29
	v_add_u32_e32 v30, v42, v6                                 // 0000000036C4: 683C0D2A
	v_mul_u32_u24_dpp v39, v18, v54 row_newbcast:1 row_mask:0xf bank_mask:0xf// 0000000036C8: 104E6CFA FF015112
	v_mul_u32_u24_dpp v40, v18, v54 row_newbcast:2 row_mask:0xf bank_mask:0xf// 0000000036D0: 10506CFA FF015212
	v_mul_u32_u24_dpp v41, v18, v54 row_newbcast:5 row_mask:0xf bank_mask:0xf// 0000000036D8: 10526CFA FF015512
	v_mul_u32_u24_dpp v42, v18, v54 row_newbcast:6 row_mask:0xf bank_mask:0xf// 0000000036E0: 10546CFA FF015612
	v_add_u32_e32 v200, v39, v7                                // 0000000036E8: 69900F27
	v_add_u32_e32 v201, v40, v7                                // 0000000036EC: 69920F28
	v_add_u32_e32 v202, v41, v7                                // 0000000036F0: 69940F29
	v_add_u32_e32 v203, v42, v7                                // 0000000036F4: 69960F2A
	v_mul_u32_u24_dpp v39, v18, v54 row_newbcast:9 row_mask:0xf bank_mask:0xf// 0000000036F8: 104E6CFA FF015912
	v_mul_u32_u24_dpp v40, v18, v54 row_newbcast:10 row_mask:0xf bank_mask:0xf// 000000003700: 10506CFA FF015A12
	v_mul_u32_u24_dpp v41, v18, v54 row_newbcast:13 row_mask:0xf bank_mask:0xf// 000000003708: 10526CFA FF015D12
	v_mul_u32_u24_dpp v42, v18, v54 row_newbcast:7 row_mask:0xf bank_mask:0xf// 000000003710: 10546CFA FF015712
	v_add_u32_e32 v204, v39, v7                                // 000000003718: 69980F27
	v_add_u32_e32 v205, v40, v7                                // 00000000371C: 699A0F28
	v_add_u32_e32 v206, v41, v7                                // 000000003720: 699C0F29
	v_add_u32_e32 v207, v42, v7                                // 000000003724: 699E0F2A
	v_add_u32_e32 v1, s56, v1                                  // 000000003728: 68020238
	s_addk_i32 s70, 0x100                                      // 00000000372C: B7460100
	s_cmp_lt_i32 s70, s71                                      // 000000003730: BF044746
	s_cbranch_scc0 label_054F                                  // 000000003734: BF840001
	s_branch label_01BA                                        // 000000003738: BF82FC6B

000000000000373c <label_054F>:
	s_nop 0                                                    // 00000000373C: BF800000
	s_nop 0                                                    // 000000003740: BF800000
	s_branch label_08E7                                        // 000000003744: BF820395

0000000000003748 <label_0552>:
	s_waitcnt vmcnt(16) lgkmcnt(0)                             // 000000003748: BF8C4070
	v_mfma_f32_16x16x16_f16 v[112:115], a[0:1], v[80:81], 0    // 00000000374C: D3CD0070 0A02A100
	buffer_load_dwordx4 a[64:67], v27, s[16:19], 0 offen       // 000000003754: E05C1000 8084401B
	v_mfma_f32_16x16x16_f16 v[112:115], a[2:3], v[82:83], v[112:115]// 00000000375C: D3CD0070 0DC2A502
	v_mfma_f32_16x16x16_f16 v[112:115], a[4:5], v[84:85], v[112:115]// 000000003764: D3CD0070 0DC2A904
	buffer_load_dword v17, v1, s[24:27], 0 offen               // 00000000376C: E0501000 80061101
	v_mfma_f32_16x16x16_f16 v[112:115], a[6:7], v[86:87], v[112:115]// 000000003774: D3CD0070 0DC2AD06
	v_mfma_f32_16x16x16_f16 v[112:115], a[8:9], v[88:89], v[112:115]// 00000000377C: D3CD0070 0DC2B108
	buffer_load_dwordx4 a[68:71], v27, s[16:19], 0 offen offset:1024// 000000003784: E05C1400 8084441B
	v_mfma_f32_16x16x16_f16 v[112:115], a[10:11], v[90:91], v[112:115]// 00000000378C: D3CD0070 0DC2B50A
	v_mfma_f32_16x16x16_f16 v[112:115], a[12:13], v[92:93], v[112:115]// 000000003794: D3CD0070 0DC2B90C
	v_mfma_f32_16x16x16_f16 v[112:115], a[14:15], v[94:95], v[112:115]// 00000000379C: D3CD0070 0DC2BD0E
	v_mfma_f32_16x16x16_f16 v[116:119], a[16:17], v[80:81], 0  // 0000000037A4: D3CD0074 0A02A110
	buffer_load_dwordx4 a[72:75], v27, s[16:19], 0 offen offset:2048// 0000000037AC: E05C1800 8084481B
	v_mfma_f32_16x16x16_f16 v[116:119], a[18:19], v[82:83], v[116:119]// 0000000037B4: D3CD0074 0DD2A512
	v_mfma_f32_16x16x16_f16 v[116:119], a[20:21], v[84:85], v[116:119]// 0000000037BC: D3CD0074 0DD2A914
	v_mfma_f32_16x16x16_f16 v[116:119], a[22:23], v[86:87], v[116:119]// 0000000037C4: D3CD0074 0DD2AD16
	v_mfma_f32_16x16x16_f16 v[116:119], a[24:25], v[88:89], v[116:119]// 0000000037CC: D3CD0074 0DD2B118
	buffer_load_dwordx4 a[76:79], v27, s[16:19], 0 offen offset:3072// 0000000037D4: E05C1C00 80844C1B
	v_mfma_f32_16x16x16_f16 v[116:119], a[26:27], v[90:91], v[116:119]// 0000000037DC: D3CD0074 0DD2B51A
	v_mfma_f32_16x16x16_f16 v[116:119], a[28:29], v[92:93], v[116:119]// 0000000037E4: D3CD0074 0DD2B91C
	v_mfma_f32_16x16x16_f16 v[116:119], a[30:31], v[94:95], v[116:119]// 0000000037EC: D3CD0074 0DD2BD1E
	v_mfma_f32_16x16x16_f16 v[120:123], a[32:33], v[80:81], 0  // 0000000037F4: D3CD0078 0A02A120
	buffer_load_dwordx4 a[80:83], v28, s[16:19], 0 offen       // 0000000037FC: E05C1000 8084501C
	v_mfma_f32_16x16x16_f16 v[120:123], a[34:35], v[82:83], v[120:123]// 000000003804: D3CD0078 0DE2A522
	v_mfma_f32_16x16x16_f16 v[120:123], a[36:37], v[84:85], v[120:123]// 00000000380C: D3CD0078 0DE2A924
	v_mfma_f32_16x16x16_f16 v[120:123], a[38:39], v[86:87], v[120:123]// 000000003814: D3CD0078 0DE2AD26
	v_mfma_f32_16x16x16_f16 v[120:123], a[40:41], v[88:89], v[120:123]// 00000000381C: D3CD0078 0DE2B128
	buffer_load_dwordx4 a[84:87], v28, s[16:19], 0 offen offset:1024// 000000003824: E05C1400 8084541C
	v_mfma_f32_16x16x16_f16 v[120:123], a[42:43], v[90:91], v[120:123]// 00000000382C: D3CD0078 0DE2B52A
	v_mfma_f32_16x16x16_f16 v[120:123], a[44:45], v[92:93], v[120:123]// 000000003834: D3CD0078 0DE2B92C
	v_mfma_f32_16x16x16_f16 v[120:123], a[46:47], v[94:95], v[120:123]// 00000000383C: D3CD0078 0DE2BD2E
	v_mfma_f32_16x16x16_f16 v[124:127], a[48:49], v[80:81], 0  // 000000003844: D3CD007C 0A02A130
	buffer_load_dwordx4 a[88:91], v28, s[16:19], 0 offen offset:2048// 00000000384C: E05C1800 8084581C
	v_mfma_f32_16x16x16_f16 v[124:127], a[50:51], v[82:83], v[124:127]// 000000003854: D3CD007C 0DF2A532
	v_mfma_f32_16x16x16_f16 v[124:127], a[52:53], v[84:85], v[124:127]// 00000000385C: D3CD007C 0DF2A934
	v_mfma_f32_16x16x16_f16 v[124:127], a[54:55], v[86:87], v[124:127]// 000000003864: D3CD007C 0DF2AD36
	v_mfma_f32_16x16x16_f16 v[124:127], a[56:57], v[88:89], v[124:127]// 00000000386C: D3CD007C 0DF2B138
	buffer_load_dwordx4 a[92:95], v28, s[16:19], 0 offen offset:3072// 000000003874: E05C1C00 80845C1C
	v_mfma_f32_16x16x16_f16 v[124:127], a[58:59], v[90:91], v[124:127]// 00000000387C: D3CD007C 0DF2B53A
	v_mfma_f32_16x16x16_f16 v[124:127], a[60:61], v[92:93], v[124:127]// 000000003884: D3CD007C 0DF2B93C
	v_mfma_f32_16x16x16_f16 v[124:127], a[62:63], v[94:95], v[124:127]// 00000000388C: D3CD007C 0DF2BD3E
	buffer_load_dwordx4 a[96:99], v29, s[16:19], 0 offen       // 000000003894: E05C1000 8084601D
	s_nop 8                                                    // 00000000389C: BF800008
	v_or_b32_dpp v112, v120, v112 row_shr:8 row_mask:0xf bank_mask:0xf bound_ctrl:1// 0000000038A0: 28E0E0FA FF091878
	v_or_b32_dpp v113, v121, v113 row_shr:8 row_mask:0xf bank_mask:0xf bound_ctrl:1// 0000000038A8: 28E2E2FA FF091879
	v_or_b32_dpp v114, v122, v114 row_shr:8 row_mask:0xf bank_mask:0xf bound_ctrl:1// 0000000038B0: 28E4E4FA FF09187A
	v_or_b32_dpp v115, v123, v115 row_shr:8 row_mask:0xf bank_mask:0xf bound_ctrl:1// 0000000038B8: 28E6E6FA FF09187B
	v_or_b32_dpp v116, v124, v116 row_shr:8 row_mask:0xf bank_mask:0xf bound_ctrl:1// 0000000038C0: 28E8E8FA FF09187C
	v_or_b32_dpp v117, v125, v117 row_shr:8 row_mask:0xf bank_mask:0xf bound_ctrl:1// 0000000038C8: 28EAEAFA FF09187D
	v_or_b32_dpp v118, v126, v118 row_shr:8 row_mask:0xf bank_mask:0xf bound_ctrl:1// 0000000038D0: 28ECECFA FF09187E
	v_or_b32_dpp v119, v127, v119 row_shr:8 row_mask:0xf bank_mask:0xf bound_ctrl:1// 0000000038D8: 28EEEEFA FF09187F
	buffer_load_dwordx4 a[100:103], v29, s[16:19], 0 offen offset:1024// 0000000038E0: E05C1400 8084641D
	v_mov_b32_e32 v50, v112                                    // 0000000038E8: 7E640370
	v_max3_f32 v50, v112, v113, v50                            // 0000000038EC: D1D30032 04CAE370
	v_max3_f32 v50, v114, v115, v50                            // 0000000038F4: D1D30032 04CAE772
	v_max3_f32 v50, v116, v117, v50                            // 0000000038FC: D1D30032 04CAEB74
	v_max3_f32 v50, v118, v119, v50                            // 000000003904: D1D30032 04CAEF76
	ds_write_b32 v11, v50                                      // 00000000390C: D81A0000 0000320B
	buffer_load_dwordx4 a[104:107], v29, s[16:19], 0 offen offset:2048// 000000003914: E05C1800 8084681D
	s_waitcnt lgkmcnt(0)                                       // 00000000391C: BF8CC07F
	s_barrier                                                  // 000000003920: BF8A0000
	ds_read_b32 v64, v10                                       // 000000003924: D86C0000 4000000A
	buffer_load_dwordx4 a[108:111], v29, s[16:19], 0 offen offset:3072// 00000000392C: E05C1C00 80846C1D
	ds_read_b32 v65, v10 offset:64                             // 000000003934: D86C0040 4100000A
	ds_read_b32 v66, v10 offset:128                            // 00000000393C: D86C0080 4200000A
	ds_read_b32 v67, v10 offset:192                            // 000000003944: D86C00C0 4300000A
	ds_read_b32 v68, v10 offset:256                            // 00000000394C: D86C0100 4400000A
	ds_read_b32 v69, v10 offset:320                            // 000000003954: D86C0140 4500000A
	ds_read_b32 v70, v10 offset:384                            // 00000000395C: D86C0180 4600000A
	ds_read_b32 v71, v10 offset:448                            // 000000003964: D86C01C0 4700000A
	ds_read_b32 v72, v10 offset:512                            // 00000000396C: D86C0200 4800000A
	buffer_load_dwordx4 a[112:115], v30, s[16:19], 0 offen     // 000000003974: E05C1000 8084701E
	ds_read_b32 v73, v10 offset:576                            // 00000000397C: D86C0240 4900000A
	ds_read_b32 v74, v10 offset:640                            // 000000003984: D86C0280 4A00000A
	ds_read_b32 v75, v10 offset:704                            // 00000000398C: D86C02C0 4B00000A
	ds_read_b32 v76, v10 offset:768                            // 000000003994: D86C0300 4C00000A
	ds_read_b32 v77, v10 offset:832                            // 00000000399C: D86C0340 4D00000A
	ds_read_b32 v78, v10 offset:896                            // 0000000039A4: D86C0380 4E00000A
	ds_read_b32 v79, v10 offset:960                            // 0000000039AC: D86C03C0 4F00000A
	buffer_load_dwordx4 a[116:119], v30, s[16:19], 0 offen offset:1024// 0000000039B4: E05C1400 8084741E
	buffer_load_dwordx4 a[120:123], v30, s[16:19], 0 offen offset:2048// 0000000039BC: E05C1800 8084781E
	s_waitcnt lgkmcnt(0)                                       // 0000000039C4: BF8CC07F
	v_max3_f32 v50, v64, v65, v50                              // 0000000039C8: D1D30032 04CA8340
	v_max3_f32 v50, v66, v67, v50                              // 0000000039D0: D1D30032 04CA8742
	v_max3_f32 v50, v68, v69, v50                              // 0000000039D8: D1D30032 04CA8B44
	v_max3_f32 v50, v70, v71, v50                              // 0000000039E0: D1D30032 04CA8F46
	v_max3_f32 v50, v72, v73, v50                              // 0000000039E8: D1D30032 04CA9348
	v_max3_f32 v50, v74, v75, v50                              // 0000000039F0: D1D30032 04CA974A
	v_max3_f32 v50, v76, v77, v50                              // 0000000039F8: D1D30032 04CA9B4C
	v_max3_f32 v50, v78, v79, v50                              // 000000003A00: D1D30032 04CA9F4E
	buffer_load_dwordx4 a[124:127], v30, s[16:19], 0 offen offset:3072// 000000003A08: E05C1C00 80847C1E
	v_cmp_eq_u32_e64 s[40:41], v55, v14                        // 000000003A10: D0CA0028 00021D37
	s_nop 1                                                    // 000000003A18: BF800001
	v_mov_b32_dpp v39, v50 row_ror:8 row_mask:0xf bank_mask:0xf// 000000003A1C: 7E4E02FA FF012832
	v_max_f32_e32 v50, v50, v39                                // 000000003A24: 16644F32
	v_max_f32_e32 v16, v50, v14                                // 000000003A28: 16201D32
	v_sub_f32_e32 v51, v14, v16                                // 000000003A2C: 0466210E
	v_cndmask_b32_e64 v51, v51, 0, s[40:41]                    // 000000003A30: D1000033 00A10133
	v_mov_b32_e32 v14, v16                                     // 000000003A38: 7E1C0310
	v_mul_f32_e32 v53, s64, v16                                // 000000003A3C: 0A6A2040
	v_mul_f32_e32 v51, s64, v51                                // 000000003A40: 0A666640
	v_exp_f32_e32 v51, v51                                     // 000000003A44: 7E664133
	buffer_load_dwordx4 a[192:195], v200, s[20:23], 0 offen    // 000000003A48: E05C1000 8085C0C8
	v_fma_f32 v112, v112, s64, -v53                            // 000000003A50: D1CB0070 84D48170
	v_fma_f32 v113, v113, s64, -v53                            // 000000003A58: D1CB0071 84D48171
	v_fma_f32 v114, v114, s64, -v53                            // 000000003A60: D1CB0072 84D48172
	v_fma_f32 v115, v115, s64, -v53                            // 000000003A68: D1CB0073 84D48173
	v_fma_f32 v116, v116, s64, -v53                            // 000000003A70: D1CB0074 84D48174
	v_fma_f32 v117, v117, s64, -v53                            // 000000003A78: D1CB0075 84D48175
	v_fma_f32 v118, v118, s64, -v53                            // 000000003A80: D1CB0076 84D48176
	v_fma_f32 v119, v119, s64, -v53                            // 000000003A88: D1CB0077 84D48177
	v_exp_f32_e32 v112, v112                                   // 000000003A90: 7EE04170
	v_exp_f32_e32 v113, v113                                   // 000000003A94: 7EE24171
	v_exp_f32_e32 v114, v114                                   // 000000003A98: 7EE44172
	v_exp_f32_e32 v115, v115                                   // 000000003A9C: 7EE64173
	v_exp_f32_e32 v116, v116                                   // 000000003AA0: 7EE84174
	v_exp_f32_e32 v117, v117                                   // 000000003AA4: 7EEA4175
	v_exp_f32_e32 v118, v118                                   // 000000003AA8: 7EEC4176
	v_exp_f32_e32 v119, v119                                   // 000000003AAC: 7EEE4177
	buffer_load_dwordx4 a[196:199], v201, s[20:23], 0 offen    // 000000003AB0: E05C1000 8085C4C9
	v_mul_f32_e32 v43, v51, v43                                // 000000003AB8: 0A565733
	v_mov_b32_e32 v45, v112                                    // 000000003ABC: 7E5A0370
	v_add_f32_e32 v45, v113, v45                               // 000000003AC0: 025A5B71
	v_add_f32_e32 v45, v114, v45                               // 000000003AC4: 025A5B72
	v_add_f32_e32 v45, v115, v45                               // 000000003AC8: 025A5B73
	v_add_f32_e32 v45, v116, v45                               // 000000003ACC: 025A5B74
	v_add_f32_e32 v45, v117, v45                               // 000000003AD0: 025A5B75
	v_add_f32_e32 v45, v118, v45                               // 000000003AD4: 025A5B76
	v_add_f32_e32 v45, v119, v45                               // 000000003AD8: 025A5B77
	v_add_f32_e32 v43, v45, v43                                // 000000003ADC: 0256572D
	buffer_load_dwordx4 a[200:203], v202, s[20:23], 0 offen    // 000000003AE0: E05C1000 8085C8CA
	v_cvt_pkrtz_f16_f32 v39, v112, v113                        // 000000003AE8: D2960027 0002E370
	v_mov_b32_e32 v112, v39                                    // 000000003AF0: 7EE00327
	v_cvt_pkrtz_f16_f32 v39, v114, v115                        // 000000003AF4: D2960027 0002E772
	v_mov_b32_e32 v113, v39                                    // 000000003AFC: 7EE20327
	v_cvt_pkrtz_f16_f32 v39, v116, v117                        // 000000003B00: D2960027 0002EB74
	v_mov_b32_e32 v114, v39                                    // 000000003B08: 7EE40327
	v_cvt_pkrtz_f16_f32 v39, v118, v119                        // 000000003B0C: D2960027 0002EF76
	v_mov_b32_e32 v115, v39                                    // 000000003B14: 7EE60327
	buffer_load_dwordx4 a[204:207], v203, s[20:23], 0 offen    // 000000003B18: E05C1000 8085CCCB
	buffer_load_dwordx4 a[208:211], v204, s[20:23], 0 offen    // 000000003B20: E05C1000 8085D0CC
	ds_write_b64 v13, v[112:113] offset:4096                   // 000000003B28: D89A1000 0000700D
	ds_write_b64 v13, v[114:115] offset:6144                   // 000000003B30: D89A1800 0000720D
	buffer_load_dwordx4 a[212:215], v205, s[20:23], 0 offen    // 000000003B38: E05C1000 8085D4CD
	s_waitcnt lgkmcnt(0)                                       // 000000003B40: BF8CC07F
	s_barrier                                                  // 000000003B44: BF8A0000
	ds_read_b64 v[112:113], v12 offset:4096                    // 000000003B48: D8EC1000 7000000C
	ds_read_b64 v[114:115], v12 offset:4224                    // 000000003B50: D8EC1080 7200000C
	ds_read_b64 v[116:117], v12 offset:5120                    // 000000003B58: D8EC1400 7400000C
	ds_read_b64 v[118:119], v12 offset:5248                    // 000000003B60: D8EC1480 7600000C
	ds_read_b64 v[120:121], v12 offset:6144                    // 000000003B68: D8EC1800 7800000C
	ds_read_b64 v[122:123], v12 offset:6272                    // 000000003B70: D8EC1880 7A00000C
	ds_read_b64 v[124:125], v12 offset:7168                    // 000000003B78: D8EC1C00 7C00000C
	ds_read_b64 v[126:127], v12 offset:7296                    // 000000003B80: D8EC1C80 7E00000C
	buffer_load_dwordx4 a[216:219], v206, s[20:23], 0 offen    // 000000003B88: E05C1000 8085D8CE
	s_waitcnt lgkmcnt(0)                                       // 000000003B90: BF8CC07F
	v_mov_b32_dpp v128, v112 row_shl:8 row_mask:0xf bank_mask:0xf bound_ctrl:1// 000000003B94: 7F0002FA FF090870
	v_and_b32_e32 v112, v112, v9                               // 000000003B9C: 26E01370
	v_mov_b32_dpp v129, v113 row_shl:8 row_mask:0xf bank_mask:0xf bound_ctrl:1// 000000003BA0: 7F0202FA FF090871
	v_and_b32_e32 v113, v113, v9                               // 000000003BA8: 26E21371
	v_mov_b32_dpp v130, v114 row_shl:8 row_mask:0xf bank_mask:0xf bound_ctrl:1// 000000003BAC: 7F0402FA FF090872
	v_and_b32_e32 v114, v114, v9                               // 000000003BB4: 26E41372
	v_mov_b32_dpp v131, v115 row_shl:8 row_mask:0xf bank_mask:0xf bound_ctrl:1// 000000003BB8: 7F0602FA FF090873
	v_and_b32_e32 v115, v115, v9                               // 000000003BC0: 26E61373
	v_mov_b32_dpp v132, v116 row_shl:8 row_mask:0xf bank_mask:0xf bound_ctrl:1// 000000003BC4: 7F0802FA FF090874
	v_and_b32_e32 v116, v116, v9                               // 000000003BCC: 26E81374
	v_mov_b32_dpp v133, v117 row_shl:8 row_mask:0xf bank_mask:0xf bound_ctrl:1// 000000003BD0: 7F0A02FA FF090875
	v_and_b32_e32 v117, v117, v9                               // 000000003BD8: 26EA1375
	v_mov_b32_dpp v134, v118 row_shl:8 row_mask:0xf bank_mask:0xf bound_ctrl:1// 000000003BDC: 7F0C02FA FF090876
	v_and_b32_e32 v118, v118, v9                               // 000000003BE4: 26EC1376
	v_mov_b32_dpp v135, v119 row_shl:8 row_mask:0xf bank_mask:0xf bound_ctrl:1// 000000003BE8: 7F0E02FA FF090877
	v_and_b32_e32 v119, v119, v9                               // 000000003BF0: 26EE1377
	v_mov_b32_dpp v136, v120 row_shl:8 row_mask:0xf bank_mask:0xf bound_ctrl:1// 000000003BF4: 7F1002FA FF090878
	v_and_b32_e32 v120, v120, v9                               // 000000003BFC: 26F01378
	v_mov_b32_dpp v137, v121 row_shl:8 row_mask:0xf bank_mask:0xf bound_ctrl:1// 000000003C00: 7F1202FA FF090879
	v_and_b32_e32 v121, v121, v9                               // 000000003C08: 26F21379
	v_mov_b32_dpp v138, v122 row_shl:8 row_mask:0xf bank_mask:0xf bound_ctrl:1// 000000003C0C: 7F1402FA FF09087A
	v_and_b32_e32 v122, v122, v9                               // 000000003C14: 26F4137A
	v_mov_b32_dpp v139, v123 row_shl:8 row_mask:0xf bank_mask:0xf bound_ctrl:1// 000000003C18: 7F1602FA FF09087B
	v_and_b32_e32 v123, v123, v9                               // 000000003C20: 26F6137B
	v_mov_b32_dpp v140, v124 row_shl:8 row_mask:0xf bank_mask:0xf bound_ctrl:1// 000000003C24: 7F1802FA FF09087C
	v_and_b32_e32 v124, v124, v9                               // 000000003C2C: 26F8137C
	v_mov_b32_dpp v141, v125 row_shl:8 row_mask:0xf bank_mask:0xf bound_ctrl:1// 000000003C30: 7F1A02FA FF09087D
	v_and_b32_e32 v125, v125, v9                               // 000000003C38: 26FA137D
	v_mov_b32_dpp v142, v126 row_shl:8 row_mask:0xf bank_mask:0xf bound_ctrl:1// 000000003C3C: 7F1C02FA FF09087E
	v_and_b32_e32 v126, v126, v9                               // 000000003C44: 26FC137E
	v_mov_b32_dpp v143, v127 row_shl:8 row_mask:0xf bank_mask:0xf bound_ctrl:1// 000000003C48: 7F1E02FA FF09087F
	v_and_b32_e32 v127, v127, v9                               // 000000003C50: 26FE137F
	buffer_load_dwordx4 a[220:223], v207, s[20:23], 0 offen    // 000000003C54: E05C1000 8085DCCF
	v_mul_f32_e32 v176, v51, v176                              // 000000003C5C: 0B616133
	v_mul_f32_e32 v177, v51, v177                              // 000000003C60: 0B636333
	v_mul_f32_e32 v178, v51, v178                              // 000000003C64: 0B656533
	v_mul_f32_e32 v179, v51, v179                              // 000000003C68: 0B676733
	v_mul_f32_e32 v180, v51, v180                              // 000000003C6C: 0B696933
	v_mul_f32_e32 v181, v51, v181                              // 000000003C70: 0B6B6B33
	v_mul_f32_e32 v182, v51, v182                              // 000000003C74: 0B6D6D33
	v_mul_f32_e32 v183, v51, v183                              // 000000003C78: 0B6F6F33
	s_waitcnt vmcnt(24)                                        // 000000003C7C: BF8C4F78
	v_mfma_f32_16x16x16_f16 v[176:179], a[128:129], v[112:113], v[176:179]// 000000003C80: D3CD00B0 0EC2E180
	buffer_load_dwordx4 a[224:227], v200, s[20:23], 0 offen offset:1024// 000000003C88: E05C1400 8085E0C8
	v_mfma_f32_16x16x16_f16 v[176:179], a[130:131], v[114:115], v[176:179]// 000000003C90: D3CD00B0 0EC2E582
	v_mfma_f32_16x16x16_f16 v[176:179], a[132:133], v[116:117], v[176:179]// 000000003C98: D3CD00B0 0EC2E984
	v_mfma_f32_16x16x16_f16 v[176:179], a[134:135], v[118:119], v[176:179]// 000000003CA0: D3CD00B0 0EC2ED86
	v_mfma_f32_16x16x16_f16 v[176:179], a[136:137], v[120:121], v[176:179]// 000000003CA8: D3CD00B0 0EC2F188
	buffer_load_dwordx4 a[228:231], v201, s[20:23], 0 offen offset:1024// 000000003CB0: E05C1400 8085E4C9
	v_mfma_f32_16x16x16_f16 v[176:179], a[138:139], v[122:123], v[176:179]// 000000003CB8: D3CD00B0 0EC2F58A
	v_mfma_f32_16x16x16_f16 v[176:179], a[140:141], v[124:125], v[176:179]// 000000003CC0: D3CD00B0 0EC2F98C
	v_mfma_f32_16x16x16_f16 v[176:179], a[142:143], v[126:127], v[176:179]// 000000003CC8: D3CD00B0 0EC2FD8E
	v_mfma_f32_16x16x16_f16 v[176:179], a[144:145], v[128:129], v[176:179]// 000000003CD0: D3CD00B0 0EC30190
	buffer_load_dwordx4 a[232:235], v202, s[20:23], 0 offen offset:1024// 000000003CD8: E05C1400 8085E8CA
	v_mfma_f32_16x16x16_f16 v[176:179], a[146:147], v[130:131], v[176:179]// 000000003CE0: D3CD00B0 0EC30592
	v_mfma_f32_16x16x16_f16 v[176:179], a[148:149], v[132:133], v[176:179]// 000000003CE8: D3CD00B0 0EC30994
	v_mfma_f32_16x16x16_f16 v[176:179], a[150:151], v[134:135], v[176:179]// 000000003CF0: D3CD00B0 0EC30D96
	v_mfma_f32_16x16x16_f16 v[176:179], a[152:153], v[136:137], v[176:179]// 000000003CF8: D3CD00B0 0EC31198
	buffer_load_dwordx4 a[236:239], v203, s[20:23], 0 offen offset:1024// 000000003D00: E05C1400 8085ECCB
	v_mfma_f32_16x16x16_f16 v[176:179], a[154:155], v[138:139], v[176:179]// 000000003D08: D3CD00B0 0EC3159A
	v_mfma_f32_16x16x16_f16 v[176:179], a[156:157], v[140:141], v[176:179]// 000000003D10: D3CD00B0 0EC3199C
	v_mfma_f32_16x16x16_f16 v[176:179], a[158:159], v[142:143], v[176:179]// 000000003D18: D3CD00B0 0EC31D9E
	v_mfma_f32_16x16x16_f16 v[180:183], a[160:161], v[112:113], v[180:183]// 000000003D20: D3CD00B4 0ED2E1A0
	buffer_load_dwordx4 a[240:243], v204, s[20:23], 0 offen offset:1024// 000000003D28: E05C1400 8085F0CC
	v_mfma_f32_16x16x16_f16 v[180:183], a[162:163], v[114:115], v[180:183]// 000000003D30: D3CD00B4 0ED2E5A2
	v_mfma_f32_16x16x16_f16 v[180:183], a[164:165], v[116:117], v[180:183]// 000000003D38: D3CD00B4 0ED2E9A4
	v_mfma_f32_16x16x16_f16 v[180:183], a[166:167], v[118:119], v[180:183]// 000000003D40: D3CD00B4 0ED2EDA6
	v_mfma_f32_16x16x16_f16 v[180:183], a[168:169], v[120:121], v[180:183]// 000000003D48: D3CD00B4 0ED2F1A8
	buffer_load_dwordx4 a[244:247], v205, s[20:23], 0 offen offset:1024// 000000003D50: E05C1400 8085F4CD
	v_mfma_f32_16x16x16_f16 v[180:183], a[170:171], v[122:123], v[180:183]// 000000003D58: D3CD00B4 0ED2F5AA
	v_mfma_f32_16x16x16_f16 v[180:183], a[172:173], v[124:125], v[180:183]// 000000003D60: D3CD00B4 0ED2F9AC
	v_mfma_f32_16x16x16_f16 v[180:183], a[174:175], v[126:127], v[180:183]// 000000003D68: D3CD00B4 0ED2FDAE
	v_mfma_f32_16x16x16_f16 v[180:183], a[176:177], v[128:129], v[180:183]// 000000003D70: D3CD00B4 0ED301B0
	buffer_load_dwordx4 a[248:251], v206, s[20:23], 0 offen offset:1024// 000000003D78: E05C1400 8085F8CE
	v_mfma_f32_16x16x16_f16 v[180:183], a[178:179], v[130:131], v[180:183]// 000000003D80: D3CD00B4 0ED305B2
	v_mfma_f32_16x16x16_f16 v[180:183], a[180:181], v[132:133], v[180:183]// 000000003D88: D3CD00B4 0ED309B4
	v_mfma_f32_16x16x16_f16 v[180:183], a[182:183], v[134:135], v[180:183]// 000000003D90: D3CD00B4 0ED30DB6
	v_mfma_f32_16x16x16_f16 v[180:183], a[184:185], v[136:137], v[180:183]// 000000003D98: D3CD00B4 0ED311B8
	buffer_load_dwordx4 a[252:255], v207, s[20:23], 0 offen offset:1024// 000000003DA0: E05C1400 8085FCCF
	v_mfma_f32_16x16x16_f16 v[180:183], a[186:187], v[138:139], v[180:183]// 000000003DA8: D3CD00B4 0ED315BA
	v_mfma_f32_16x16x16_f16 v[180:183], a[188:189], v[140:141], v[180:183]// 000000003DB0: D3CD00B4 0ED319BC
	v_mfma_f32_16x16x16_f16 v[180:183], a[190:191], v[142:143], v[180:183]// 000000003DB8: D3CD00B4 0ED31DBE
	s_lshr_b32 s60, s70, 4                                     // 000000003DC0: 8F3C8446
	s_add_u32 s60, 48, s60                                     // 000000003DC4: 803C3CB0
	s_cmp_ge_u32 s60, s73                                      // 000000003DC8: BF09493C
	s_cselect_b32 s56, 0, s56                                  // 000000003DCC: 85383880
	v_mul_u32_u24_dpp v39, v17, v54 row_newbcast:0 row_mask:0xf bank_mask:0xf// 000000003DD0: 104E6CFA FF015011
	v_mul_u32_u24_dpp v40, v17, v54 row_newbcast:4 row_mask:0xf bank_mask:0xf// 000000003DD8: 10506CFA FF015411
	v_mul_u32_u24_dpp v41, v17, v54 row_newbcast:8 row_mask:0xf bank_mask:0xf// 000000003DE0: 10526CFA FF015811
	v_mul_u32_u24_dpp v42, v17, v54 row_newbcast:12 row_mask:0xf bank_mask:0xf// 000000003DE8: 10546CFA FF015C11
	v_add_u32_e32 v23, v39, v6                                 // 000000003DF0: 682E0D27
	v_add_u32_e32 v24, v40, v6                                 // 000000003DF4: 68300D28
	v_add_u32_e32 v25, v41, v6                                 // 000000003DF8: 68320D29
	v_add_u32_e32 v26, v42, v6                                 // 000000003DFC: 68340D2A
	v_mul_u32_u24_dpp v39, v17, v54 row_newbcast:1 row_mask:0xf bank_mask:0xf// 000000003E00: 104E6CFA FF015111
	v_mul_u32_u24_dpp v40, v17, v54 row_newbcast:2 row_mask:0xf bank_mask:0xf// 000000003E08: 10506CFA FF015211
	v_mul_u32_u24_dpp v41, v17, v54 row_newbcast:5 row_mask:0xf bank_mask:0xf// 000000003E10: 10526CFA FF015511
	v_mul_u32_u24_dpp v42, v17, v54 row_newbcast:6 row_mask:0xf bank_mask:0xf// 000000003E18: 10546CFA FF015611
	v_add_u32_e32 v192, v39, v7                                // 000000003E20: 69800F27
	v_add_u32_e32 v193, v40, v7                                // 000000003E24: 69820F28
	v_add_u32_e32 v194, v41, v7                                // 000000003E28: 69840F29
	v_add_u32_e32 v195, v42, v7                                // 000000003E2C: 69860F2A
	v_mul_u32_u24_dpp v39, v17, v54 row_newbcast:9 row_mask:0xf bank_mask:0xf// 000000003E30: 104E6CFA FF015911
	v_mul_u32_u24_dpp v40, v17, v54 row_newbcast:10 row_mask:0xf bank_mask:0xf// 000000003E38: 10506CFA FF015A11
	v_mul_u32_u24_dpp v41, v17, v54 row_newbcast:13 row_mask:0xf bank_mask:0xf// 000000003E40: 10526CFA FF015D11
	v_mul_u32_u24_dpp v42, v17, v54 row_newbcast:7 row_mask:0xf bank_mask:0xf// 000000003E48: 10546CFA FF015711
	v_add_u32_e32 v196, v39, v7                                // 000000003E50: 69880F27
	v_add_u32_e32 v197, v40, v7                                // 000000003E54: 698A0F28
	v_add_u32_e32 v198, v41, v7                                // 000000003E58: 698C0F29
	v_add_u32_e32 v199, v42, v7                                // 000000003E5C: 698E0F2A
	v_add_u32_e32 v1, s56, v1                                  // 000000003E60: 68020238
	s_addk_i32 s70, 0x100                                      // 000000003E64: B7460100
	s_cmp_lt_i32 s70, s71                                      // 000000003E68: BF044746
	s_cbranch_scc0 label_054F                                  // 000000003E6C: BF84FE33
	s_waitcnt vmcnt(16) lgkmcnt(0)                             // 000000003E70: BF8C4070
	v_mfma_f32_16x16x16_f16 v[112:115], a[64:65], v[80:81], 0  // 000000003E74: D3CD0070 0A02A140
	buffer_load_dwordx4 a[0:3], v23, s[16:19], 0 offen         // 000000003E7C: E05C1000 80840017
	v_mfma_f32_16x16x16_f16 v[112:115], a[66:67], v[82:83], v[112:115]// 000000003E84: D3CD0070 0DC2A542
	v_mfma_f32_16x16x16_f16 v[112:115], a[68:69], v[84:85], v[112:115]// 000000003E8C: D3CD0070 0DC2A944
	buffer_load_dword v18, v1, s[24:27], 0 offen               // 000000003E94: E0501000 80061201
	v_mfma_f32_16x16x16_f16 v[112:115], a[70:71], v[86:87], v[112:115]// 000000003E9C: D3CD0070 0DC2AD46
	v_mfma_f32_16x16x16_f16 v[112:115], a[72:73], v[88:89], v[112:115]// 000000003EA4: D3CD0070 0DC2B148
	buffer_load_dwordx4 a[4:7], v23, s[16:19], 0 offen offset:1024// 000000003EAC: E05C1400 80840417
	v_mfma_f32_16x16x16_f16 v[112:115], a[74:75], v[90:91], v[112:115]// 000000003EB4: D3CD0070 0DC2B54A
	v_mfma_f32_16x16x16_f16 v[112:115], a[76:77], v[92:93], v[112:115]// 000000003EBC: D3CD0070 0DC2B94C
	v_mfma_f32_16x16x16_f16 v[112:115], a[78:79], v[94:95], v[112:115]// 000000003EC4: D3CD0070 0DC2BD4E
	v_mfma_f32_16x16x16_f16 v[116:119], a[80:81], v[80:81], 0  // 000000003ECC: D3CD0074 0A02A150
	buffer_load_dwordx4 a[8:11], v23, s[16:19], 0 offen offset:2048// 000000003ED4: E05C1800 80840817
	v_mfma_f32_16x16x16_f16 v[116:119], a[82:83], v[82:83], v[116:119]// 000000003EDC: D3CD0074 0DD2A552
	v_mfma_f32_16x16x16_f16 v[116:119], a[84:85], v[84:85], v[116:119]// 000000003EE4: D3CD0074 0DD2A954
	v_mfma_f32_16x16x16_f16 v[116:119], a[86:87], v[86:87], v[116:119]// 000000003EEC: D3CD0074 0DD2AD56
	v_mfma_f32_16x16x16_f16 v[116:119], a[88:89], v[88:89], v[116:119]// 000000003EF4: D3CD0074 0DD2B158
	buffer_load_dwordx4 a[12:15], v23, s[16:19], 0 offen offset:3072// 000000003EFC: E05C1C00 80840C17
	v_mfma_f32_16x16x16_f16 v[116:119], a[90:91], v[90:91], v[116:119]// 000000003F04: D3CD0074 0DD2B55A
	v_mfma_f32_16x16x16_f16 v[116:119], a[92:93], v[92:93], v[116:119]// 000000003F0C: D3CD0074 0DD2B95C
	v_mfma_f32_16x16x16_f16 v[116:119], a[94:95], v[94:95], v[116:119]// 000000003F14: D3CD0074 0DD2BD5E
	v_mfma_f32_16x16x16_f16 v[120:123], a[96:97], v[80:81], 0  // 000000003F1C: D3CD0078 0A02A160
	buffer_load_dwordx4 a[16:19], v24, s[16:19], 0 offen       // 000000003F24: E05C1000 80841018
	v_mfma_f32_16x16x16_f16 v[120:123], a[98:99], v[82:83], v[120:123]// 000000003F2C: D3CD0078 0DE2A562
	v_mfma_f32_16x16x16_f16 v[120:123], a[100:101], v[84:85], v[120:123]// 000000003F34: D3CD0078 0DE2A964
	v_mfma_f32_16x16x16_f16 v[120:123], a[102:103], v[86:87], v[120:123]// 000000003F3C: D3CD0078 0DE2AD66
	v_mfma_f32_16x16x16_f16 v[120:123], a[104:105], v[88:89], v[120:123]// 000000003F44: D3CD0078 0DE2B168
	buffer_load_dwordx4 a[20:23], v24, s[16:19], 0 offen offset:1024// 000000003F4C: E05C1400 80841418
	v_mfma_f32_16x16x16_f16 v[120:123], a[106:107], v[90:91], v[120:123]// 000000003F54: D3CD0078 0DE2B56A
	v_mfma_f32_16x16x16_f16 v[120:123], a[108:109], v[92:93], v[120:123]// 000000003F5C: D3CD0078 0DE2B96C
	v_mfma_f32_16x16x16_f16 v[120:123], a[110:111], v[94:95], v[120:123]// 000000003F64: D3CD0078 0DE2BD6E
	v_mfma_f32_16x16x16_f16 v[124:127], a[112:113], v[80:81], 0// 000000003F6C: D3CD007C 0A02A170
	buffer_load_dwordx4 a[24:27], v24, s[16:19], 0 offen offset:2048// 000000003F74: E05C1800 80841818
	v_mfma_f32_16x16x16_f16 v[124:127], a[114:115], v[82:83], v[124:127]// 000000003F7C: D3CD007C 0DF2A572
	v_mfma_f32_16x16x16_f16 v[124:127], a[116:117], v[84:85], v[124:127]// 000000003F84: D3CD007C 0DF2A974
	v_mfma_f32_16x16x16_f16 v[124:127], a[118:119], v[86:87], v[124:127]// 000000003F8C: D3CD007C 0DF2AD76
	v_mfma_f32_16x16x16_f16 v[124:127], a[120:121], v[88:89], v[124:127]// 000000003F94: D3CD007C 0DF2B178
	buffer_load_dwordx4 a[28:31], v24, s[16:19], 0 offen offset:3072// 000000003F9C: E05C1C00 80841C18
	v_mfma_f32_16x16x16_f16 v[124:127], a[122:123], v[90:91], v[124:127]// 000000003FA4: D3CD007C 0DF2B57A
	v_mfma_f32_16x16x16_f16 v[124:127], a[124:125], v[92:93], v[124:127]// 000000003FAC: D3CD007C 0DF2B97C
	v_mfma_f32_16x16x16_f16 v[124:127], a[126:127], v[94:95], v[124:127]// 000000003FB4: D3CD007C 0DF2BD7E
	buffer_load_dwordx4 a[32:35], v25, s[16:19], 0 offen       // 000000003FBC: E05C1000 80842019
	s_nop 8                                                    // 000000003FC4: BF800008
	v_or_b32_dpp v112, v120, v112 row_shr:8 row_mask:0xf bank_mask:0xf bound_ctrl:1// 000000003FC8: 28E0E0FA FF091878
	v_or_b32_dpp v113, v121, v113 row_shr:8 row_mask:0xf bank_mask:0xf bound_ctrl:1// 000000003FD0: 28E2E2FA FF091879
	v_or_b32_dpp v114, v122, v114 row_shr:8 row_mask:0xf bank_mask:0xf bound_ctrl:1// 000000003FD8: 28E4E4FA FF09187A
	v_or_b32_dpp v115, v123, v115 row_shr:8 row_mask:0xf bank_mask:0xf bound_ctrl:1// 000000003FE0: 28E6E6FA FF09187B
	v_or_b32_dpp v116, v124, v116 row_shr:8 row_mask:0xf bank_mask:0xf bound_ctrl:1// 000000003FE8: 28E8E8FA FF09187C
	v_or_b32_dpp v117, v125, v117 row_shr:8 row_mask:0xf bank_mask:0xf bound_ctrl:1// 000000003FF0: 28EAEAFA FF09187D
	v_or_b32_dpp v118, v126, v118 row_shr:8 row_mask:0xf bank_mask:0xf bound_ctrl:1// 000000003FF8: 28ECECFA FF09187E
	v_or_b32_dpp v119, v127, v119 row_shr:8 row_mask:0xf bank_mask:0xf bound_ctrl:1// 000000004000: 28EEEEFA FF09187F
	buffer_load_dwordx4 a[36:39], v25, s[16:19], 0 offen offset:1024// 000000004008: E05C1400 80842419
	v_mov_b32_e32 v50, v112                                    // 000000004010: 7E640370
	v_max3_f32 v50, v112, v113, v50                            // 000000004014: D1D30032 04CAE370
	v_max3_f32 v50, v114, v115, v50                            // 00000000401C: D1D30032 04CAE772
	v_max3_f32 v50, v116, v117, v50                            // 000000004024: D1D30032 04CAEB74
	v_max3_f32 v50, v118, v119, v50                            // 00000000402C: D1D30032 04CAEF76
	ds_write_b32 v11, v50                                      // 000000004034: D81A0000 0000320B
	buffer_load_dwordx4 a[40:43], v25, s[16:19], 0 offen offset:2048// 00000000403C: E05C1800 80842819
	s_waitcnt lgkmcnt(0)                                       // 000000004044: BF8CC07F
	s_barrier                                                  // 000000004048: BF8A0000
	ds_read_b32 v64, v10                                       // 00000000404C: D86C0000 4000000A
	buffer_load_dwordx4 a[44:47], v25, s[16:19], 0 offen offset:3072// 000000004054: E05C1C00 80842C19
	ds_read_b32 v65, v10 offset:64                             // 00000000405C: D86C0040 4100000A
	ds_read_b32 v66, v10 offset:128                            // 000000004064: D86C0080 4200000A
	ds_read_b32 v67, v10 offset:192                            // 00000000406C: D86C00C0 4300000A
	ds_read_b32 v68, v10 offset:256                            // 000000004074: D86C0100 4400000A
	ds_read_b32 v69, v10 offset:320                            // 00000000407C: D86C0140 4500000A
	ds_read_b32 v70, v10 offset:384                            // 000000004084: D86C0180 4600000A
	ds_read_b32 v71, v10 offset:448                            // 00000000408C: D86C01C0 4700000A
	ds_read_b32 v72, v10 offset:512                            // 000000004094: D86C0200 4800000A
	buffer_load_dwordx4 a[48:51], v26, s[16:19], 0 offen       // 00000000409C: E05C1000 8084301A
	ds_read_b32 v73, v10 offset:576                            // 0000000040A4: D86C0240 4900000A
	ds_read_b32 v74, v10 offset:640                            // 0000000040AC: D86C0280 4A00000A
	ds_read_b32 v75, v10 offset:704                            // 0000000040B4: D86C02C0 4B00000A
	ds_read_b32 v76, v10 offset:768                            // 0000000040BC: D86C0300 4C00000A
	ds_read_b32 v77, v10 offset:832                            // 0000000040C4: D86C0340 4D00000A
	ds_read_b32 v78, v10 offset:896                            // 0000000040CC: D86C0380 4E00000A
	ds_read_b32 v79, v10 offset:960                            // 0000000040D4: D86C03C0 4F00000A
	buffer_load_dwordx4 a[52:55], v26, s[16:19], 0 offen offset:1024// 0000000040DC: E05C1400 8084341A
	buffer_load_dwordx4 a[56:59], v26, s[16:19], 0 offen offset:2048// 0000000040E4: E05C1800 8084381A
	s_waitcnt lgkmcnt(0)                                       // 0000000040EC: BF8CC07F
	v_max3_f32 v50, v64, v65, v50                              // 0000000040F0: D1D30032 04CA8340
	v_max3_f32 v50, v66, v67, v50                              // 0000000040F8: D1D30032 04CA8742
	v_max3_f32 v50, v68, v69, v50                              // 000000004100: D1D30032 04CA8B44
	v_max3_f32 v50, v70, v71, v50                              // 000000004108: D1D30032 04CA8F46
	v_max3_f32 v50, v72, v73, v50                              // 000000004110: D1D30032 04CA9348
	v_max3_f32 v50, v74, v75, v50                              // 000000004118: D1D30032 04CA974A
	v_max3_f32 v50, v76, v77, v50                              // 000000004120: D1D30032 04CA9B4C
	v_max3_f32 v50, v78, v79, v50                              // 000000004128: D1D30032 04CA9F4E
	buffer_load_dwordx4 a[60:63], v26, s[16:19], 0 offen offset:3072// 000000004130: E05C1C00 80843C1A
	v_cmp_eq_u32_e64 s[40:41], v55, v14                        // 000000004138: D0CA0028 00021D37
	s_nop 1                                                    // 000000004140: BF800001
	v_mov_b32_dpp v39, v50 row_ror:8 row_mask:0xf bank_mask:0xf// 000000004144: 7E4E02FA FF012832
	v_max_f32_e32 v50, v50, v39                                // 00000000414C: 16644F32
	v_max_f32_e32 v16, v50, v14                                // 000000004150: 16201D32
	v_sub_f32_e32 v51, v14, v16                                // 000000004154: 0466210E
	v_cndmask_b32_e64 v51, v51, 0, s[40:41]                    // 000000004158: D1000033 00A10133
	v_mov_b32_e32 v14, v16                                     // 000000004160: 7E1C0310
	v_mul_f32_e32 v53, s64, v16                                // 000000004164: 0A6A2040
	v_mul_f32_e32 v51, s64, v51                                // 000000004168: 0A666640
	v_exp_f32_e32 v51, v51                                     // 00000000416C: 7E664133
	buffer_load_dwordx4 a[128:131], v192, s[20:23], 0 offen    // 000000004170: E05C1000 808580C0
	v_fma_f32 v112, v112, s64, -v53                            // 000000004178: D1CB0070 84D48170
	v_fma_f32 v113, v113, s64, -v53                            // 000000004180: D1CB0071 84D48171
	v_fma_f32 v114, v114, s64, -v53                            // 000000004188: D1CB0072 84D48172
	v_fma_f32 v115, v115, s64, -v53                            // 000000004190: D1CB0073 84D48173
	v_fma_f32 v116, v116, s64, -v53                            // 000000004198: D1CB0074 84D48174
	v_fma_f32 v117, v117, s64, -v53                            // 0000000041A0: D1CB0075 84D48175
	v_fma_f32 v118, v118, s64, -v53                            // 0000000041A8: D1CB0076 84D48176
	v_fma_f32 v119, v119, s64, -v53                            // 0000000041B0: D1CB0077 84D48177
	v_exp_f32_e32 v112, v112                                   // 0000000041B8: 7EE04170
	v_exp_f32_e32 v113, v113                                   // 0000000041BC: 7EE24171
	v_exp_f32_e32 v114, v114                                   // 0000000041C0: 7EE44172
	v_exp_f32_e32 v115, v115                                   // 0000000041C4: 7EE64173
	v_exp_f32_e32 v116, v116                                   // 0000000041C8: 7EE84174
	v_exp_f32_e32 v117, v117                                   // 0000000041CC: 7EEA4175
	v_exp_f32_e32 v118, v118                                   // 0000000041D0: 7EEC4176
	v_exp_f32_e32 v119, v119                                   // 0000000041D4: 7EEE4177
	buffer_load_dwordx4 a[132:135], v193, s[20:23], 0 offen    // 0000000041D8: E05C1000 808584C1
	v_mul_f32_e32 v43, v51, v43                                // 0000000041E0: 0A565733
	v_mov_b32_e32 v45, v112                                    // 0000000041E4: 7E5A0370
	v_add_f32_e32 v45, v113, v45                               // 0000000041E8: 025A5B71
	v_add_f32_e32 v45, v114, v45                               // 0000000041EC: 025A5B72
	v_add_f32_e32 v45, v115, v45                               // 0000000041F0: 025A5B73
	v_add_f32_e32 v45, v116, v45                               // 0000000041F4: 025A5B74
	v_add_f32_e32 v45, v117, v45                               // 0000000041F8: 025A5B75
	v_add_f32_e32 v45, v118, v45                               // 0000000041FC: 025A5B76
	v_add_f32_e32 v45, v119, v45                               // 000000004200: 025A5B77
	v_add_f32_e32 v43, v45, v43                                // 000000004204: 0256572D
	buffer_load_dwordx4 a[136:139], v194, s[20:23], 0 offen    // 000000004208: E05C1000 808588C2
	v_cvt_pkrtz_f16_f32 v39, v112, v113                        // 000000004210: D2960027 0002E370
	v_mov_b32_e32 v112, v39                                    // 000000004218: 7EE00327
	v_cvt_pkrtz_f16_f32 v39, v114, v115                        // 00000000421C: D2960027 0002E772
	v_mov_b32_e32 v113, v39                                    // 000000004224: 7EE20327
	v_cvt_pkrtz_f16_f32 v39, v116, v117                        // 000000004228: D2960027 0002EB74
	v_mov_b32_e32 v114, v39                                    // 000000004230: 7EE40327
	v_cvt_pkrtz_f16_f32 v39, v118, v119                        // 000000004234: D2960027 0002EF76
	v_mov_b32_e32 v115, v39                                    // 00000000423C: 7EE60327
	buffer_load_dwordx4 a[140:143], v195, s[20:23], 0 offen    // 000000004240: E05C1000 80858CC3
	buffer_load_dwordx4 a[144:147], v196, s[20:23], 0 offen    // 000000004248: E05C1000 808590C4
	ds_write_b64 v13, v[112:113] offset:4096                   // 000000004250: D89A1000 0000700D
	ds_write_b64 v13, v[114:115] offset:6144                   // 000000004258: D89A1800 0000720D
	buffer_load_dwordx4 a[148:151], v197, s[20:23], 0 offen    // 000000004260: E05C1000 808594C5
	s_waitcnt lgkmcnt(0)                                       // 000000004268: BF8CC07F
	s_barrier                                                  // 00000000426C: BF8A0000
	ds_read_b64 v[112:113], v12 offset:4096                    // 000000004270: D8EC1000 7000000C
	ds_read_b64 v[114:115], v12 offset:4224                    // 000000004278: D8EC1080 7200000C
	ds_read_b64 v[116:117], v12 offset:5120                    // 000000004280: D8EC1400 7400000C
	ds_read_b64 v[118:119], v12 offset:5248                    // 000000004288: D8EC1480 7600000C
	ds_read_b64 v[120:121], v12 offset:6144                    // 000000004290: D8EC1800 7800000C
	ds_read_b64 v[122:123], v12 offset:6272                    // 000000004298: D8EC1880 7A00000C
	ds_read_b64 v[124:125], v12 offset:7168                    // 0000000042A0: D8EC1C00 7C00000C
	ds_read_b64 v[126:127], v12 offset:7296                    // 0000000042A8: D8EC1C80 7E00000C
	buffer_load_dwordx4 a[152:155], v198, s[20:23], 0 offen    // 0000000042B0: E05C1000 808598C6
	s_waitcnt lgkmcnt(0)                                       // 0000000042B8: BF8CC07F
	v_mov_b32_dpp v128, v112 row_shl:8 row_mask:0xf bank_mask:0xf bound_ctrl:1// 0000000042BC: 7F0002FA FF090870
	v_and_b32_e32 v112, v112, v9                               // 0000000042C4: 26E01370
	v_mov_b32_dpp v129, v113 row_shl:8 row_mask:0xf bank_mask:0xf bound_ctrl:1// 0000000042C8: 7F0202FA FF090871
	v_and_b32_e32 v113, v113, v9                               // 0000000042D0: 26E21371
	v_mov_b32_dpp v130, v114 row_shl:8 row_mask:0xf bank_mask:0xf bound_ctrl:1// 0000000042D4: 7F0402FA FF090872
	v_and_b32_e32 v114, v114, v9                               // 0000000042DC: 26E41372
	v_mov_b32_dpp v131, v115 row_shl:8 row_mask:0xf bank_mask:0xf bound_ctrl:1// 0000000042E0: 7F0602FA FF090873
	v_and_b32_e32 v115, v115, v9                               // 0000000042E8: 26E61373
	v_mov_b32_dpp v132, v116 row_shl:8 row_mask:0xf bank_mask:0xf bound_ctrl:1// 0000000042EC: 7F0802FA FF090874
	v_and_b32_e32 v116, v116, v9                               // 0000000042F4: 26E81374
	v_mov_b32_dpp v133, v117 row_shl:8 row_mask:0xf bank_mask:0xf bound_ctrl:1// 0000000042F8: 7F0A02FA FF090875
	v_and_b32_e32 v117, v117, v9                               // 000000004300: 26EA1375
	v_mov_b32_dpp v134, v118 row_shl:8 row_mask:0xf bank_mask:0xf bound_ctrl:1// 000000004304: 7F0C02FA FF090876
	v_and_b32_e32 v118, v118, v9                               // 00000000430C: 26EC1376
	v_mov_b32_dpp v135, v119 row_shl:8 row_mask:0xf bank_mask:0xf bound_ctrl:1// 000000004310: 7F0E02FA FF090877
	v_and_b32_e32 v119, v119, v9                               // 000000004318: 26EE1377
	v_mov_b32_dpp v136, v120 row_shl:8 row_mask:0xf bank_mask:0xf bound_ctrl:1// 00000000431C: 7F1002FA FF090878
	v_and_b32_e32 v120, v120, v9                               // 000000004324: 26F01378
	v_mov_b32_dpp v137, v121 row_shl:8 row_mask:0xf bank_mask:0xf bound_ctrl:1// 000000004328: 7F1202FA FF090879
	v_and_b32_e32 v121, v121, v9                               // 000000004330: 26F21379
	v_mov_b32_dpp v138, v122 row_shl:8 row_mask:0xf bank_mask:0xf bound_ctrl:1// 000000004334: 7F1402FA FF09087A
	v_and_b32_e32 v122, v122, v9                               // 00000000433C: 26F4137A
	v_mov_b32_dpp v139, v123 row_shl:8 row_mask:0xf bank_mask:0xf bound_ctrl:1// 000000004340: 7F1602FA FF09087B
	v_and_b32_e32 v123, v123, v9                               // 000000004348: 26F6137B
	v_mov_b32_dpp v140, v124 row_shl:8 row_mask:0xf bank_mask:0xf bound_ctrl:1// 00000000434C: 7F1802FA FF09087C
	v_and_b32_e32 v124, v124, v9                               // 000000004354: 26F8137C
	v_mov_b32_dpp v141, v125 row_shl:8 row_mask:0xf bank_mask:0xf bound_ctrl:1// 000000004358: 7F1A02FA FF09087D
	v_and_b32_e32 v125, v125, v9                               // 000000004360: 26FA137D
	v_mov_b32_dpp v142, v126 row_shl:8 row_mask:0xf bank_mask:0xf bound_ctrl:1// 000000004364: 7F1C02FA FF09087E
	v_and_b32_e32 v126, v126, v9                               // 00000000436C: 26FC137E
	v_mov_b32_dpp v143, v127 row_shl:8 row_mask:0xf bank_mask:0xf bound_ctrl:1// 000000004370: 7F1E02FA FF09087F
	v_and_b32_e32 v127, v127, v9                               // 000000004378: 26FE137F
	buffer_load_dwordx4 a[156:159], v199, s[20:23], 0 offen    // 00000000437C: E05C1000 80859CC7
	v_mul_f32_e32 v176, v51, v176                              // 000000004384: 0B616133
	v_mul_f32_e32 v177, v51, v177                              // 000000004388: 0B636333
	v_mul_f32_e32 v178, v51, v178                              // 00000000438C: 0B656533
	v_mul_f32_e32 v179, v51, v179                              // 000000004390: 0B676733
	v_mul_f32_e32 v180, v51, v180                              // 000000004394: 0B696933
	v_mul_f32_e32 v181, v51, v181                              // 000000004398: 0B6B6B33
	v_mul_f32_e32 v182, v51, v182                              // 00000000439C: 0B6D6D33
	v_mul_f32_e32 v183, v51, v183                              // 0000000043A0: 0B6F6F33
	s_waitcnt vmcnt(24)                                        // 0000000043A4: BF8C4F78
	v_mfma_f32_16x16x16_f16 v[176:179], a[192:193], v[112:113], v[176:179]// 0000000043A8: D3CD00B0 0EC2E1C0
	buffer_load_dwordx4 a[160:163], v192, s[20:23], 0 offen offset:1024// 0000000043B0: E05C1400 8085A0C0
	v_mfma_f32_16x16x16_f16 v[176:179], a[194:195], v[114:115], v[176:179]// 0000000043B8: D3CD00B0 0EC2E5C2
	v_mfma_f32_16x16x16_f16 v[176:179], a[196:197], v[116:117], v[176:179]// 0000000043C0: D3CD00B0 0EC2E9C4
	v_mfma_f32_16x16x16_f16 v[176:179], a[198:199], v[118:119], v[176:179]// 0000000043C8: D3CD00B0 0EC2EDC6
	v_mfma_f32_16x16x16_f16 v[176:179], a[200:201], v[120:121], v[176:179]// 0000000043D0: D3CD00B0 0EC2F1C8
	buffer_load_dwordx4 a[164:167], v193, s[20:23], 0 offen offset:1024// 0000000043D8: E05C1400 8085A4C1
	v_mfma_f32_16x16x16_f16 v[176:179], a[202:203], v[122:123], v[176:179]// 0000000043E0: D3CD00B0 0EC2F5CA
	v_mfma_f32_16x16x16_f16 v[176:179], a[204:205], v[124:125], v[176:179]// 0000000043E8: D3CD00B0 0EC2F9CC
	v_mfma_f32_16x16x16_f16 v[176:179], a[206:207], v[126:127], v[176:179]// 0000000043F0: D3CD00B0 0EC2FDCE
	v_mfma_f32_16x16x16_f16 v[176:179], a[208:209], v[128:129], v[176:179]// 0000000043F8: D3CD00B0 0EC301D0
	buffer_load_dwordx4 a[168:171], v194, s[20:23], 0 offen offset:1024// 000000004400: E05C1400 8085A8C2
	v_mfma_f32_16x16x16_f16 v[176:179], a[210:211], v[130:131], v[176:179]// 000000004408: D3CD00B0 0EC305D2
	v_mfma_f32_16x16x16_f16 v[176:179], a[212:213], v[132:133], v[176:179]// 000000004410: D3CD00B0 0EC309D4
	v_mfma_f32_16x16x16_f16 v[176:179], a[214:215], v[134:135], v[176:179]// 000000004418: D3CD00B0 0EC30DD6
	v_mfma_f32_16x16x16_f16 v[176:179], a[216:217], v[136:137], v[176:179]// 000000004420: D3CD00B0 0EC311D8
	buffer_load_dwordx4 a[172:175], v195, s[20:23], 0 offen offset:1024// 000000004428: E05C1400 8085ACC3
	v_mfma_f32_16x16x16_f16 v[176:179], a[218:219], v[138:139], v[176:179]// 000000004430: D3CD00B0 0EC315DA
	v_mfma_f32_16x16x16_f16 v[176:179], a[220:221], v[140:141], v[176:179]// 000000004438: D3CD00B0 0EC319DC
	v_mfma_f32_16x16x16_f16 v[176:179], a[222:223], v[142:143], v[176:179]// 000000004440: D3CD00B0 0EC31DDE
	v_mfma_f32_16x16x16_f16 v[180:183], a[224:225], v[112:113], v[180:183]// 000000004448: D3CD00B4 0ED2E1E0
	buffer_load_dwordx4 a[176:179], v196, s[20:23], 0 offen offset:1024// 000000004450: E05C1400 8085B0C4
	v_mfma_f32_16x16x16_f16 v[180:183], a[226:227], v[114:115], v[180:183]// 000000004458: D3CD00B4 0ED2E5E2
	v_mfma_f32_16x16x16_f16 v[180:183], a[228:229], v[116:117], v[180:183]// 000000004460: D3CD00B4 0ED2E9E4
	v_mfma_f32_16x16x16_f16 v[180:183], a[230:231], v[118:119], v[180:183]// 000000004468: D3CD00B4 0ED2EDE6
	v_mfma_f32_16x16x16_f16 v[180:183], a[232:233], v[120:121], v[180:183]// 000000004470: D3CD00B4 0ED2F1E8
	buffer_load_dwordx4 a[180:183], v197, s[20:23], 0 offen offset:1024// 000000004478: E05C1400 8085B4C5
	v_mfma_f32_16x16x16_f16 v[180:183], a[234:235], v[122:123], v[180:183]// 000000004480: D3CD00B4 0ED2F5EA
	v_mfma_f32_16x16x16_f16 v[180:183], a[236:237], v[124:125], v[180:183]// 000000004488: D3CD00B4 0ED2F9EC
	v_mfma_f32_16x16x16_f16 v[180:183], a[238:239], v[126:127], v[180:183]// 000000004490: D3CD00B4 0ED2FDEE
	v_mfma_f32_16x16x16_f16 v[180:183], a[240:241], v[128:129], v[180:183]// 000000004498: D3CD00B4 0ED301F0
	buffer_load_dwordx4 a[184:187], v198, s[20:23], 0 offen offset:1024// 0000000044A0: E05C1400 8085B8C6
	v_mfma_f32_16x16x16_f16 v[180:183], a[242:243], v[130:131], v[180:183]// 0000000044A8: D3CD00B4 0ED305F2
	v_mfma_f32_16x16x16_f16 v[180:183], a[244:245], v[132:133], v[180:183]// 0000000044B0: D3CD00B4 0ED309F4
	v_mfma_f32_16x16x16_f16 v[180:183], a[246:247], v[134:135], v[180:183]// 0000000044B8: D3CD00B4 0ED30DF6
	v_mfma_f32_16x16x16_f16 v[180:183], a[248:249], v[136:137], v[180:183]// 0000000044C0: D3CD00B4 0ED311F8
	buffer_load_dwordx4 a[188:191], v199, s[20:23], 0 offen offset:1024// 0000000044C8: E05C1400 8085BCC7
	v_mfma_f32_16x16x16_f16 v[180:183], a[250:251], v[138:139], v[180:183]// 0000000044D0: D3CD00B4 0ED315FA
	v_mfma_f32_16x16x16_f16 v[180:183], a[252:253], v[140:141], v[180:183]// 0000000044D8: D3CD00B4 0ED319FC
	v_mfma_f32_16x16x16_f16 v[180:183], a[254:255], v[142:143], v[180:183]// 0000000044E0: D3CD00B4 0ED31DFE
	s_lshr_b32 s60, s70, 4                                     // 0000000044E8: 8F3C8446
	s_add_u32 s60, 48, s60                                     // 0000000044EC: 803C3CB0
	s_cmp_ge_u32 s60, s73                                      // 0000000044F0: BF09493C
	s_cselect_b32 s56, 0, s56                                  // 0000000044F4: 85383880
	v_mul_u32_u24_dpp v39, v18, v54 row_newbcast:0 row_mask:0xf bank_mask:0xf// 0000000044F8: 104E6CFA FF015012
	v_mul_u32_u24_dpp v40, v18, v54 row_newbcast:4 row_mask:0xf bank_mask:0xf// 000000004500: 10506CFA FF015412
	v_mul_u32_u24_dpp v41, v18, v54 row_newbcast:8 row_mask:0xf bank_mask:0xf// 000000004508: 10526CFA FF015812
	v_mul_u32_u24_dpp v42, v18, v54 row_newbcast:12 row_mask:0xf bank_mask:0xf// 000000004510: 10546CFA FF015C12
	v_add_u32_e32 v27, v39, v6                                 // 000000004518: 68360D27
	v_add_u32_e32 v28, v40, v6                                 // 00000000451C: 68380D28
	v_add_u32_e32 v29, v41, v6                                 // 000000004520: 683A0D29
	v_add_u32_e32 v30, v42, v6                                 // 000000004524: 683C0D2A
	v_mul_u32_u24_dpp v39, v18, v54 row_newbcast:1 row_mask:0xf bank_mask:0xf// 000000004528: 104E6CFA FF015112
	v_mul_u32_u24_dpp v40, v18, v54 row_newbcast:2 row_mask:0xf bank_mask:0xf// 000000004530: 10506CFA FF015212
	v_mul_u32_u24_dpp v41, v18, v54 row_newbcast:5 row_mask:0xf bank_mask:0xf// 000000004538: 10526CFA FF015512
	v_mul_u32_u24_dpp v42, v18, v54 row_newbcast:6 row_mask:0xf bank_mask:0xf// 000000004540: 10546CFA FF015612
	v_add_u32_e32 v200, v39, v7                                // 000000004548: 69900F27
	v_add_u32_e32 v201, v40, v7                                // 00000000454C: 69920F28
	v_add_u32_e32 v202, v41, v7                                // 000000004550: 69940F29
	v_add_u32_e32 v203, v42, v7                                // 000000004554: 69960F2A
	v_mul_u32_u24_dpp v39, v18, v54 row_newbcast:9 row_mask:0xf bank_mask:0xf// 000000004558: 104E6CFA FF015912
	v_mul_u32_u24_dpp v40, v18, v54 row_newbcast:10 row_mask:0xf bank_mask:0xf// 000000004560: 10506CFA FF015A12
	v_mul_u32_u24_dpp v41, v18, v54 row_newbcast:13 row_mask:0xf bank_mask:0xf// 000000004568: 10526CFA FF015D12
	v_mul_u32_u24_dpp v42, v18, v54 row_newbcast:7 row_mask:0xf bank_mask:0xf// 000000004570: 10546CFA FF015712
	v_add_u32_e32 v204, v39, v7                                // 000000004578: 69980F27
	v_add_u32_e32 v205, v40, v7                                // 00000000457C: 699A0F28
	v_add_u32_e32 v206, v41, v7                                // 000000004580: 699C0F29
	v_add_u32_e32 v207, v42, v7                                // 000000004584: 699E0F2A
	v_add_u32_e32 v1, s56, v1                                  // 000000004588: 68020238
	s_addk_i32 s70, 0x100                                      // 00000000458C: B7460100
	s_cmp_lt_i32 s70, s71                                      // 000000004590: BF044746
	s_cbranch_scc0 label_054F                                  // 000000004594: BF84FC69
	s_branch label_0552                                        // 000000004598: BF82FC6B

000000000000459c <label_08E7>:
	s_lshr_b32 s60, s71, 4                                     // 00000000459C: 8F3C8447
	s_cmp_eq_i32 s60, s73                                      // 0000000045A0: BF00493C
	s_cbranch_scc1 label_0E03                                  // 0000000045A4: BF850518
	s_and_b32 s60, s72, 0xff                                   // 0000000045A8: 863CFF48 000000FF
	s_cmp_le_i32 s60, 64                                       // 0000000045B0: BF05C03C
	s_cbranch_scc0 label_0A67                                  // 0000000045B4: BF840178
	s_lshr_b32 s60, s71, 8                                     // 0000000045B8: 8F3C8847
	s_and_b32 s60, s60, 1                                      // 0000000045BC: 863C813C
	s_cmp_eq_i32 s60, 1                                        // 0000000045C0: BF00813C
	s_cbranch_scc1 label_09AC                                  // 0000000045C4: BF8500BA
	s_waitcnt vmcnt(16) lgkmcnt(0)                             // 0000000045C8: BF8C4070
	v_mfma_f32_16x16x16_f16 v[112:115], a[0:1], v[80:81], 0    // 0000000045CC: D3CD0070 0A02A100
	v_mfma_f32_16x16x16_f16 v[112:115], a[2:3], v[82:83], v[112:115]// 0000000045D4: D3CD0070 0DC2A502
	v_mfma_f32_16x16x16_f16 v[112:115], a[4:5], v[84:85], v[112:115]// 0000000045DC: D3CD0070 0DC2A904
	v_mfma_f32_16x16x16_f16 v[112:115], a[6:7], v[86:87], v[112:115]// 0000000045E4: D3CD0070 0DC2AD06
	v_mfma_f32_16x16x16_f16 v[112:115], a[8:9], v[88:89], v[112:115]// 0000000045EC: D3CD0070 0DC2B108
	v_mfma_f32_16x16x16_f16 v[112:115], a[10:11], v[90:91], v[112:115]// 0000000045F4: D3CD0070 0DC2B50A
	v_mfma_f32_16x16x16_f16 v[112:115], a[12:13], v[92:93], v[112:115]// 0000000045FC: D3CD0070 0DC2B90C
	v_mfma_f32_16x16x16_f16 v[112:115], a[14:15], v[94:95], v[112:115]// 000000004604: D3CD0070 0DC2BD0E
	s_and_b32 s60, s72, 0xff                                   // 00000000460C: 863CFF48 000000FF
	v_mov_b32_e32 v56, s60                                     // 000000004614: 7E70023C
	v_lshrrev_b32_e32 v31, 4, v0                               // 000000004618: 203E0084
	v_mul_i32_i24_e32 v31, 4, v31                              // 00000000461C: 0C3E3E84
	s_mul_i32 s60, s7, 16                                      // 000000004620: 923C9007
	v_add_u32_e32 v31, s60, v31                                // 000000004624: 683E3E3C
	v_add_u32_e32 v32, 1, v31                                  // 000000004628: 68403E81
	v_add_u32_e32 v33, 2, v31                                  // 00000000462C: 68423E82
	v_add_u32_e32 v34, 3, v31                                  // 000000004630: 68443E83
	v_and_b32_e32 v39, v55, v9                                 // 000000004634: 264E1337
	v_cmp_lt_u32_e64 s[40:41], v31, v56                        // 000000004638: D0C90028 0002711F
	v_add_u32_e32 v31, 64, v31                                 // 000000004640: 683E3EC0
	s_nop 0                                                    // 000000004644: BF800000
	v_cndmask_b32_e64 v112, v39, v112, s[40:41]                // 000000004648: D1000070 00A2E127
	v_cmp_lt_u32_e64 s[40:41], v32, v56                        // 000000004650: D0C90028 00027120
	v_add_u32_e32 v32, 64, v32                                 // 000000004658: 684040C0
	s_nop 0                                                    // 00000000465C: BF800000
	v_cndmask_b32_e64 v113, v39, v113, s[40:41]                // 000000004660: D1000071 00A2E327
	v_cmp_lt_u32_e64 s[40:41], v33, v56                        // 000000004668: D0C90028 00027121
	v_add_u32_e32 v33, 64, v33                                 // 000000004670: 684242C0
	s_nop 0                                                    // 000000004674: BF800000
	v_cndmask_b32_e64 v114, v39, v114, s[40:41]                // 000000004678: D1000072 00A2E527
	v_cmp_lt_u32_e64 s[40:41], v34, v56                        // 000000004680: D0C90028 00027122
	v_add_u32_e32 v34, 64, v34                                 // 000000004688: 684444C0
	s_nop 0                                                    // 00000000468C: BF800000
	v_cndmask_b32_e64 v115, v39, v115, s[40:41]                // 000000004690: D1000073 00A2E727
	s_nop 1                                                    // 000000004698: BF800001
	v_or_b32_dpp v112, v114, v112 row_shr:8 row_mask:0xf bank_mask:0xf bound_ctrl:1// 00000000469C: 28E0E0FA FF091872
	v_or_b32_dpp v113, v115, v113 row_shr:8 row_mask:0xf bank_mask:0xf bound_ctrl:1// 0000000046A4: 28E2E2FA FF091873
	v_max_f32_e32 v50, v112, v113                              // 0000000046AC: 1664E370
	ds_write_b32 v11, v50                                      // 0000000046B0: D81A0000 0000320B
	s_waitcnt lgkmcnt(0)                                       // 0000000046B8: BF8CC07F
	s_barrier                                                  // 0000000046BC: BF8A0000
	ds_read_b32 v64, v10                                       // 0000000046C0: D86C0000 4000000A
	ds_read_b32 v65, v10 offset:64                             // 0000000046C8: D86C0040 4100000A
	ds_read_b32 v66, v10 offset:128                            // 0000000046D0: D86C0080 4200000A
	ds_read_b32 v67, v10 offset:192                            // 0000000046D8: D86C00C0 4300000A
	ds_read_b32 v68, v10 offset:256                            // 0000000046E0: D86C0100 4400000A
	ds_read_b32 v69, v10 offset:320                            // 0000000046E8: D86C0140 4500000A
	ds_read_b32 v70, v10 offset:384                            // 0000000046F0: D86C0180 4600000A
	ds_read_b32 v71, v10 offset:448                            // 0000000046F8: D86C01C0 4700000A
	ds_read_b32 v72, v10 offset:512                            // 000000004700: D86C0200 4800000A
	ds_read_b32 v73, v10 offset:576                            // 000000004708: D86C0240 4900000A
	ds_read_b32 v74, v10 offset:640                            // 000000004710: D86C0280 4A00000A
	ds_read_b32 v75, v10 offset:704                            // 000000004718: D86C02C0 4B00000A
	ds_read_b32 v76, v10 offset:768                            // 000000004720: D86C0300 4C00000A
	ds_read_b32 v77, v10 offset:832                            // 000000004728: D86C0340 4D00000A
	ds_read_b32 v78, v10 offset:896                            // 000000004730: D86C0380 4E00000A
	ds_read_b32 v79, v10 offset:960                            // 000000004738: D86C03C0 4F00000A
	s_waitcnt lgkmcnt(0)                                       // 000000004740: BF8CC07F
	v_max3_f32 v50, v64, v65, v50                              // 000000004744: D1D30032 04CA8340
	v_max3_f32 v50, v66, v67, v50                              // 00000000474C: D1D30032 04CA8742
	v_max3_f32 v50, v68, v69, v50                              // 000000004754: D1D30032 04CA8B44
	v_max3_f32 v50, v70, v71, v50                              // 00000000475C: D1D30032 04CA8F46
	v_max3_f32 v50, v72, v73, v50                              // 000000004764: D1D30032 04CA9348
	v_max3_f32 v50, v74, v75, v50                              // 00000000476C: D1D30032 04CA974A
	v_max3_f32 v50, v76, v77, v50                              // 000000004774: D1D30032 04CA9B4C
	v_max3_f32 v50, v78, v79, v50                              // 00000000477C: D1D30032 04CA9F4E
	s_nop 1                                                    // 000000004784: BF800001
	v_mov_b32_dpp v39, v50 row_ror:8 row_mask:0xf bank_mask:0xf// 000000004788: 7E4E02FA FF012832
	v_max_f32_e32 v50, v50, v39                                // 000000004790: 16644F32
	v_max_f32_e32 v16, v50, v14                                // 000000004794: 16201D32
	v_sub_f32_e32 v51, v14, v16                                // 000000004798: 0466210E
	v_mov_b32_e32 v14, v16                                     // 00000000479C: 7E1C0310
	v_mul_f32_e32 v53, s64, v16                                // 0000000047A0: 0A6A2040
	v_mul_f32_e32 v51, s64, v51                                // 0000000047A4: 0A666640
	v_exp_f32_e32 v51, v51                                     // 0000000047A8: 7E664133
	v_fma_f32 v112, v112, s64, -v53                            // 0000000047AC: D1CB0070 84D48170
	v_fma_f32 v113, v113, s64, -v53                            // 0000000047B4: D1CB0071 84D48171
	v_exp_f32_e32 v112, v112                                   // 0000000047BC: 7EE04170
	v_exp_f32_e32 v113, v113                                   // 0000000047C0: 7EE24171
	v_mul_f32_e32 v43, v51, v43                                // 0000000047C4: 0A565733
	v_mov_b32_e32 v45, v112                                    // 0000000047C8: 7E5A0370
	v_add_f32_e32 v45, v113, v45                               // 0000000047CC: 025A5B71
	v_add_f32_e32 v43, v45, v43                                // 0000000047D0: 0256572D
	v_cvt_pkrtz_f16_f32 v39, v112, v113                        // 0000000047D4: D2960027 0002E370
	v_mov_b32_e32 v112, v39                                    // 0000000047DC: 7EE00327
	ds_write_b64 v13, v[112:113] offset:4096                   // 0000000047E0: D89A1000 0000700D
	s_waitcnt lgkmcnt(0)                                       // 0000000047E8: BF8CC07F
	s_barrier                                                  // 0000000047EC: BF8A0000
	ds_read_b64 v[112:113], v12 offset:4096                    // 0000000047F0: D8EC1000 7000000C
	ds_read_b64 v[114:115], v12 offset:4224                    // 0000000047F8: D8EC1080 7200000C
	ds_read_b64 v[116:117], v12 offset:5120                    // 000000004800: D8EC1400 7400000C
	ds_read_b64 v[118:119], v12 offset:5248                    // 000000004808: D8EC1480 7600000C
	s_waitcnt lgkmcnt(0)                                       // 000000004810: BF8CC07F
	v_mov_b32_dpp v113, v112 row_shl:8 row_mask:0xf bank_mask:0xf bound_ctrl:1// 000000004814: 7EE202FA FF090870
	v_and_b32_e32 v112, v112, v9                               // 00000000481C: 26E01370
	v_mov_b32_dpp v115, v114 row_shl:8 row_mask:0xf bank_mask:0xf bound_ctrl:1// 000000004820: 7EE602FA FF090872
	v_and_b32_e32 v114, v114, v9                               // 000000004828: 26E41372
	v_mov_b32_dpp v117, v116 row_shl:8 row_mask:0xf bank_mask:0xf bound_ctrl:1// 00000000482C: 7EEA02FA FF090874
	v_and_b32_e32 v116, v116, v9                               // 000000004834: 26E81374
	v_mov_b32_dpp v119, v118 row_shl:8 row_mask:0xf bank_mask:0xf bound_ctrl:1// 000000004838: 7EEE02FA FF090876
	v_and_b32_e32 v118, v118, v9                               // 000000004840: 26EC1376
	v_mul_f32_e32 v176, v51, v176                              // 000000004844: 0B616133
	v_mul_f32_e32 v177, v51, v177                              // 000000004848: 0B636333
	v_mul_f32_e32 v178, v51, v178                              // 00000000484C: 0B656533
	v_mul_f32_e32 v179, v51, v179                              // 000000004850: 0B676733
	v_mul_f32_e32 v180, v51, v180                              // 000000004854: 0B696933
	v_mul_f32_e32 v181, v51, v181                              // 000000004858: 0B6B6B33
	v_mul_f32_e32 v182, v51, v182                              // 00000000485C: 0B6D6D33
	v_mul_f32_e32 v183, v51, v183                              // 000000004860: 0B6F6F33
	s_waitcnt vmcnt(0)                                         // 000000004864: BF8C0F70
	v_mfma_f32_16x16x16_f16 v[176:179], a[128:129], v[112:113], v[176:179]// 000000004868: D3CD00B0 0EC2E180
	v_mfma_f32_16x16x16_f16 v[176:179], a[130:131], v[114:115], v[176:179]// 000000004870: D3CD00B0 0EC2E582
	v_mfma_f32_16x16x16_f16 v[176:179], a[132:133], v[116:117], v[176:179]// 000000004878: D3CD00B0 0EC2E984
	v_mfma_f32_16x16x16_f16 v[176:179], a[134:135], v[118:119], v[176:179]// 000000004880: D3CD00B0 0EC2ED86
	v_mfma_f32_16x16x16_f16 v[180:183], a[160:161], v[112:113], v[180:183]// 000000004888: D3CD00B4 0ED2E1A0
	v_mfma_f32_16x16x16_f16 v[180:183], a[162:163], v[114:115], v[180:183]// 000000004890: D3CD00B4 0ED2E5A2
	v_mfma_f32_16x16x16_f16 v[180:183], a[164:165], v[116:117], v[180:183]// 000000004898: D3CD00B4 0ED2E9A4
	v_mfma_f32_16x16x16_f16 v[180:183], a[166:167], v[118:119], v[180:183]// 0000000048A0: D3CD00B4 0ED2EDA6
	s_nop 8                                                    // 0000000048A8: BF800008
	s_branch label_0E03                                        // 0000000048AC: BF820456

00000000000048b0 <label_09AC>:
	s_waitcnt vmcnt(16) lgkmcnt(0)                             // 0000000048B0: BF8C4070
	v_mfma_f32_16x16x16_f16 v[112:115], a[64:65], v[80:81], 0  // 0000000048B4: D3CD0070 0A02A140
	v_mfma_f32_16x16x16_f16 v[112:115], a[66:67], v[82:83], v[112:115]// 0000000048BC: D3CD0070 0DC2A542
	v_mfma_f32_16x16x16_f16 v[112:115], a[68:69], v[84:85], v[112:115]// 0000000048C4: D3CD0070 0DC2A944
	v_mfma_f32_16x16x16_f16 v[112:115], a[70:71], v[86:87], v[112:115]// 0000000048CC: D3CD0070 0DC2AD46
	v_mfma_f32_16x16x16_f16 v[112:115], a[72:73], v[88:89], v[112:115]// 0000000048D4: D3CD0070 0DC2B148
	v_mfma_f32_16x16x16_f16 v[112:115], a[74:75], v[90:91], v[112:115]// 0000000048DC: D3CD0070 0DC2B54A
	v_mfma_f32_16x16x16_f16 v[112:115], a[76:77], v[92:93], v[112:115]// 0000000048E4: D3CD0070 0DC2B94C
	v_mfma_f32_16x16x16_f16 v[112:115], a[78:79], v[94:95], v[112:115]// 0000000048EC: D3CD0070 0DC2BD4E
	s_and_b32 s60, s72, 0xff                                   // 0000000048F4: 863CFF48 000000FF
	v_mov_b32_e32 v56, s60                                     // 0000000048FC: 7E70023C
	v_lshrrev_b32_e32 v31, 4, v0                               // 000000004900: 203E0084
	v_mul_i32_i24_e32 v31, 4, v31                              // 000000004904: 0C3E3E84
	s_mul_i32 s60, s7, 16                                      // 000000004908: 923C9007
	v_add_u32_e32 v31, s60, v31                                // 00000000490C: 683E3E3C
	v_add_u32_e32 v32, 1, v31                                  // 000000004910: 68403E81
	v_add_u32_e32 v33, 2, v31                                  // 000000004914: 68423E82
	v_add_u32_e32 v34, 3, v31                                  // 000000004918: 68443E83
	v_and_b32_e32 v39, v55, v9                                 // 00000000491C: 264E1337
	v_cmp_lt_u32_e64 s[40:41], v31, v56                        // 000000004920: D0C90028 0002711F
	v_add_u32_e32 v31, 64, v31                                 // 000000004928: 683E3EC0
	s_nop 0                                                    // 00000000492C: BF800000
	v_cndmask_b32_e64 v112, v39, v112, s[40:41]                // 000000004930: D1000070 00A2E127
	v_cmp_lt_u32_e64 s[40:41], v32, v56                        // 000000004938: D0C90028 00027120
	v_add_u32_e32 v32, 64, v32                                 // 000000004940: 684040C0
	s_nop 0                                                    // 000000004944: BF800000
	v_cndmask_b32_e64 v113, v39, v113, s[40:41]                // 000000004948: D1000071 00A2E327
	v_cmp_lt_u32_e64 s[40:41], v33, v56                        // 000000004950: D0C90028 00027121
	v_add_u32_e32 v33, 64, v33                                 // 000000004958: 684242C0
	s_nop 0                                                    // 00000000495C: BF800000
	v_cndmask_b32_e64 v114, v39, v114, s[40:41]                // 000000004960: D1000072 00A2E527
	v_cmp_lt_u32_e64 s[40:41], v34, v56                        // 000000004968: D0C90028 00027122
	v_add_u32_e32 v34, 64, v34                                 // 000000004970: 684444C0
	s_nop 0                                                    // 000000004974: BF800000
	v_cndmask_b32_e64 v115, v39, v115, s[40:41]                // 000000004978: D1000073 00A2E727
	s_nop 1                                                    // 000000004980: BF800001
	v_or_b32_dpp v112, v114, v112 row_shr:8 row_mask:0xf bank_mask:0xf bound_ctrl:1// 000000004984: 28E0E0FA FF091872
	v_or_b32_dpp v113, v115, v113 row_shr:8 row_mask:0xf bank_mask:0xf bound_ctrl:1// 00000000498C: 28E2E2FA FF091873
	v_max_f32_e32 v50, v112, v113                              // 000000004994: 1664E370
	ds_write_b32 v11, v50                                      // 000000004998: D81A0000 0000320B
	s_waitcnt lgkmcnt(0)                                       // 0000000049A0: BF8CC07F
	s_barrier                                                  // 0000000049A4: BF8A0000
	ds_read_b32 v64, v10                                       // 0000000049A8: D86C0000 4000000A
	ds_read_b32 v65, v10 offset:64                             // 0000000049B0: D86C0040 4100000A
	ds_read_b32 v66, v10 offset:128                            // 0000000049B8: D86C0080 4200000A
	ds_read_b32 v67, v10 offset:192                            // 0000000049C0: D86C00C0 4300000A
	ds_read_b32 v68, v10 offset:256                            // 0000000049C8: D86C0100 4400000A
	ds_read_b32 v69, v10 offset:320                            // 0000000049D0: D86C0140 4500000A
	ds_read_b32 v70, v10 offset:384                            // 0000000049D8: D86C0180 4600000A
	ds_read_b32 v71, v10 offset:448                            // 0000000049E0: D86C01C0 4700000A
	ds_read_b32 v72, v10 offset:512                            // 0000000049E8: D86C0200 4800000A
	ds_read_b32 v73, v10 offset:576                            // 0000000049F0: D86C0240 4900000A
	ds_read_b32 v74, v10 offset:640                            // 0000000049F8: D86C0280 4A00000A
	ds_read_b32 v75, v10 offset:704                            // 000000004A00: D86C02C0 4B00000A
	ds_read_b32 v76, v10 offset:768                            // 000000004A08: D86C0300 4C00000A
	ds_read_b32 v77, v10 offset:832                            // 000000004A10: D86C0340 4D00000A
	ds_read_b32 v78, v10 offset:896                            // 000000004A18: D86C0380 4E00000A
	ds_read_b32 v79, v10 offset:960                            // 000000004A20: D86C03C0 4F00000A
	s_waitcnt lgkmcnt(0)                                       // 000000004A28: BF8CC07F
	v_max3_f32 v50, v64, v65, v50                              // 000000004A2C: D1D30032 04CA8340
	v_max3_f32 v50, v66, v67, v50                              // 000000004A34: D1D30032 04CA8742
	v_max3_f32 v50, v68, v69, v50                              // 000000004A3C: D1D30032 04CA8B44
	v_max3_f32 v50, v70, v71, v50                              // 000000004A44: D1D30032 04CA8F46
	v_max3_f32 v50, v72, v73, v50                              // 000000004A4C: D1D30032 04CA9348
	v_max3_f32 v50, v74, v75, v50                              // 000000004A54: D1D30032 04CA974A
	v_max3_f32 v50, v76, v77, v50                              // 000000004A5C: D1D30032 04CA9B4C
	v_max3_f32 v50, v78, v79, v50                              // 000000004A64: D1D30032 04CA9F4E
	s_nop 1                                                    // 000000004A6C: BF800001
	v_mov_b32_dpp v39, v50 row_ror:8 row_mask:0xf bank_mask:0xf// 000000004A70: 7E4E02FA FF012832
	v_max_f32_e32 v50, v50, v39                                // 000000004A78: 16644F32
	v_max_f32_e32 v16, v50, v14                                // 000000004A7C: 16201D32
	v_sub_f32_e32 v51, v14, v16                                // 000000004A80: 0466210E
	v_mov_b32_e32 v14, v16                                     // 000000004A84: 7E1C0310
	v_mul_f32_e32 v53, s64, v16                                // 000000004A88: 0A6A2040
	v_mul_f32_e32 v51, s64, v51                                // 000000004A8C: 0A666640
	v_exp_f32_e32 v51, v51                                     // 000000004A90: 7E664133
	v_fma_f32 v112, v112, s64, -v53                            // 000000004A94: D1CB0070 84D48170
	v_fma_f32 v113, v113, s64, -v53                            // 000000004A9C: D1CB0071 84D48171
	v_exp_f32_e32 v112, v112                                   // 000000004AA4: 7EE04170
	v_exp_f32_e32 v113, v113                                   // 000000004AA8: 7EE24171
	v_mul_f32_e32 v43, v51, v43                                // 000000004AAC: 0A565733
	v_mov_b32_e32 v45, v112                                    // 000000004AB0: 7E5A0370
	v_add_f32_e32 v45, v113, v45                               // 000000004AB4: 025A5B71
	v_add_f32_e32 v43, v45, v43                                // 000000004AB8: 0256572D
	v_cvt_pkrtz_f16_f32 v39, v112, v113                        // 000000004ABC: D2960027 0002E370
	v_mov_b32_e32 v112, v39                                    // 000000004AC4: 7EE00327
	ds_write_b64 v13, v[112:113] offset:4096                   // 000000004AC8: D89A1000 0000700D
	s_waitcnt lgkmcnt(0)                                       // 000000004AD0: BF8CC07F
	s_barrier                                                  // 000000004AD4: BF8A0000
	ds_read_b64 v[112:113], v12 offset:4096                    // 000000004AD8: D8EC1000 7000000C
	ds_read_b64 v[114:115], v12 offset:4224                    // 000000004AE0: D8EC1080 7200000C
	ds_read_b64 v[116:117], v12 offset:5120                    // 000000004AE8: D8EC1400 7400000C
	ds_read_b64 v[118:119], v12 offset:5248                    // 000000004AF0: D8EC1480 7600000C
	s_waitcnt lgkmcnt(0)                                       // 000000004AF8: BF8CC07F
	v_mov_b32_dpp v113, v112 row_shl:8 row_mask:0xf bank_mask:0xf bound_ctrl:1// 000000004AFC: 7EE202FA FF090870
	v_and_b32_e32 v112, v112, v9                               // 000000004B04: 26E01370
	v_mov_b32_dpp v115, v114 row_shl:8 row_mask:0xf bank_mask:0xf bound_ctrl:1// 000000004B08: 7EE602FA FF090872
	v_and_b32_e32 v114, v114, v9                               // 000000004B10: 26E41372
	v_mov_b32_dpp v117, v116 row_shl:8 row_mask:0xf bank_mask:0xf bound_ctrl:1// 000000004B14: 7EEA02FA FF090874
	v_and_b32_e32 v116, v116, v9                               // 000000004B1C: 26E81374
	v_mov_b32_dpp v119, v118 row_shl:8 row_mask:0xf bank_mask:0xf bound_ctrl:1// 000000004B20: 7EEE02FA FF090876
	v_and_b32_e32 v118, v118, v9                               // 000000004B28: 26EC1376
	v_mul_f32_e32 v176, v51, v176                              // 000000004B2C: 0B616133
	v_mul_f32_e32 v177, v51, v177                              // 000000004B30: 0B636333
	v_mul_f32_e32 v178, v51, v178                              // 000000004B34: 0B656533
	v_mul_f32_e32 v179, v51, v179                              // 000000004B38: 0B676733
	v_mul_f32_e32 v180, v51, v180                              // 000000004B3C: 0B696933
	v_mul_f32_e32 v181, v51, v181                              // 000000004B40: 0B6B6B33
	v_mul_f32_e32 v182, v51, v182                              // 000000004B44: 0B6D6D33
	v_mul_f32_e32 v183, v51, v183                              // 000000004B48: 0B6F6F33
	s_waitcnt vmcnt(0)                                         // 000000004B4C: BF8C0F70
	v_mfma_f32_16x16x16_f16 v[176:179], a[192:193], v[112:113], v[176:179]// 000000004B50: D3CD00B0 0EC2E1C0
	v_mfma_f32_16x16x16_f16 v[176:179], a[194:195], v[114:115], v[176:179]// 000000004B58: D3CD00B0 0EC2E5C2
	v_mfma_f32_16x16x16_f16 v[176:179], a[196:197], v[116:117], v[176:179]// 000000004B60: D3CD00B0 0EC2E9C4
	v_mfma_f32_16x16x16_f16 v[176:179], a[198:199], v[118:119], v[176:179]// 000000004B68: D3CD00B0 0EC2EDC6
	v_mfma_f32_16x16x16_f16 v[180:183], a[224:225], v[112:113], v[180:183]// 000000004B70: D3CD00B4 0ED2E1E0
	v_mfma_f32_16x16x16_f16 v[180:183], a[226:227], v[114:115], v[180:183]// 000000004B78: D3CD00B4 0ED2E5E2
	v_mfma_f32_16x16x16_f16 v[180:183], a[228:229], v[116:117], v[180:183]// 000000004B80: D3CD00B4 0ED2E9E4
	v_mfma_f32_16x16x16_f16 v[180:183], a[230:231], v[118:119], v[180:183]// 000000004B88: D3CD00B4 0ED2EDE6
	s_nop 8                                                    // 000000004B90: BF800008
	s_branch label_0E03                                        // 000000004B94: BF82039C

0000000000004b98 <label_0A67>:
	s_lshr_b32 s60, s71, 8                                     // 000000004B98: 8F3C8847
	s_and_b32 s60, s60, 1                                      // 000000004B9C: 863C813C
	s_cmp_eq_i32 s60, 1                                        // 000000004BA0: BF00813C
	s_cbranch_scc1 label_0C37                                  // 000000004BA4: BF8501CC
	s_waitcnt vmcnt(16) lgkmcnt(0)                             // 000000004BA8: BF8C4070
	s_barrier                                                  // 000000004BAC: BF8A0000
	v_mfma_f32_16x16x16_f16 v[112:115], a[0:1], v[80:81], 0    // 000000004BB0: D3CD0070 0A02A100
	v_mfma_f32_16x16x16_f16 v[112:115], a[2:3], v[82:83], v[112:115]// 000000004BB8: D3CD0070 0DC2A502
	v_mfma_f32_16x16x16_f16 v[112:115], a[4:5], v[84:85], v[112:115]// 000000004BC0: D3CD0070 0DC2A904
	v_mfma_f32_16x16x16_f16 v[112:115], a[6:7], v[86:87], v[112:115]// 000000004BC8: D3CD0070 0DC2AD06
	v_mfma_f32_16x16x16_f16 v[112:115], a[8:9], v[88:89], v[112:115]// 000000004BD0: D3CD0070 0DC2B108
	v_mfma_f32_16x16x16_f16 v[112:115], a[10:11], v[90:91], v[112:115]// 000000004BD8: D3CD0070 0DC2B50A
	v_mfma_f32_16x16x16_f16 v[112:115], a[12:13], v[92:93], v[112:115]// 000000004BE0: D3CD0070 0DC2B90C
	v_mfma_f32_16x16x16_f16 v[112:115], a[14:15], v[94:95], v[112:115]// 000000004BE8: D3CD0070 0DC2BD0E
	v_mfma_f32_16x16x16_f16 v[116:119], a[16:17], v[80:81], 0  // 000000004BF0: D3CD0074 0A02A110
	v_mfma_f32_16x16x16_f16 v[116:119], a[18:19], v[82:83], v[116:119]// 000000004BF8: D3CD0074 0DD2A512
	v_mfma_f32_16x16x16_f16 v[116:119], a[20:21], v[84:85], v[116:119]// 000000004C00: D3CD0074 0DD2A914
	v_mfma_f32_16x16x16_f16 v[116:119], a[22:23], v[86:87], v[116:119]// 000000004C08: D3CD0074 0DD2AD16
	v_mfma_f32_16x16x16_f16 v[116:119], a[24:25], v[88:89], v[116:119]// 000000004C10: D3CD0074 0DD2B118
	v_mfma_f32_16x16x16_f16 v[116:119], a[26:27], v[90:91], v[116:119]// 000000004C18: D3CD0074 0DD2B51A
	v_mfma_f32_16x16x16_f16 v[116:119], a[28:29], v[92:93], v[116:119]// 000000004C20: D3CD0074 0DD2B91C
	v_mfma_f32_16x16x16_f16 v[116:119], a[30:31], v[94:95], v[116:119]// 000000004C28: D3CD0074 0DD2BD1E
	v_mfma_f32_16x16x16_f16 v[120:123], a[32:33], v[80:81], 0  // 000000004C30: D3CD0078 0A02A120
	v_mfma_f32_16x16x16_f16 v[120:123], a[34:35], v[82:83], v[120:123]// 000000004C38: D3CD0078 0DE2A522
	v_mfma_f32_16x16x16_f16 v[120:123], a[36:37], v[84:85], v[120:123]// 000000004C40: D3CD0078 0DE2A924
	v_mfma_f32_16x16x16_f16 v[120:123], a[38:39], v[86:87], v[120:123]// 000000004C48: D3CD0078 0DE2AD26
	v_mfma_f32_16x16x16_f16 v[120:123], a[40:41], v[88:89], v[120:123]// 000000004C50: D3CD0078 0DE2B128
	v_mfma_f32_16x16x16_f16 v[120:123], a[42:43], v[90:91], v[120:123]// 000000004C58: D3CD0078 0DE2B52A
	v_mfma_f32_16x16x16_f16 v[120:123], a[44:45], v[92:93], v[120:123]// 000000004C60: D3CD0078 0DE2B92C
	v_mfma_f32_16x16x16_f16 v[120:123], a[46:47], v[94:95], v[120:123]// 000000004C68: D3CD0078 0DE2BD2E
	v_mfma_f32_16x16x16_f16 v[124:127], a[48:49], v[80:81], 0  // 000000004C70: D3CD007C 0A02A130
	v_mfma_f32_16x16x16_f16 v[124:127], a[50:51], v[82:83], v[124:127]// 000000004C78: D3CD007C 0DF2A532
	v_mfma_f32_16x16x16_f16 v[124:127], a[52:53], v[84:85], v[124:127]// 000000004C80: D3CD007C 0DF2A934
	v_mfma_f32_16x16x16_f16 v[124:127], a[54:55], v[86:87], v[124:127]// 000000004C88: D3CD007C 0DF2AD36
	v_mfma_f32_16x16x16_f16 v[124:127], a[56:57], v[88:89], v[124:127]// 000000004C90: D3CD007C 0DF2B138
	v_mfma_f32_16x16x16_f16 v[124:127], a[58:59], v[90:91], v[124:127]// 000000004C98: D3CD007C 0DF2B53A
	v_mfma_f32_16x16x16_f16 v[124:127], a[60:61], v[92:93], v[124:127]// 000000004CA0: D3CD007C 0DF2B93C
	v_mfma_f32_16x16x16_f16 v[124:127], a[62:63], v[94:95], v[124:127]// 000000004CA8: D3CD007C 0DF2BD3E
	s_nop 8                                                    // 000000004CB0: BF800008
	s_and_b32 s60, s72, 0xff                                   // 000000004CB4: 863CFF48 000000FF
	v_mov_b32_e32 v56, s60                                     // 000000004CBC: 7E70023C
	v_lshrrev_b32_e32 v31, 4, v0                               // 000000004CC0: 203E0084
	v_mul_i32_i24_e32 v31, 4, v31                              // 000000004CC4: 0C3E3E84
	s_mul_i32 s60, s7, 16                                      // 000000004CC8: 923C9007
	v_add_u32_e32 v31, s60, v31                                // 000000004CCC: 683E3E3C
	v_add_u32_e32 v32, 1, v31                                  // 000000004CD0: 68403E81
	v_add_u32_e32 v33, 2, v31                                  // 000000004CD4: 68423E82
	v_add_u32_e32 v34, 3, v31                                  // 000000004CD8: 68443E83
	v_and_b32_e32 v39, v55, v9                                 // 000000004CDC: 264E1337
	v_cmp_lt_u32_e64 s[40:41], v31, v56                        // 000000004CE0: D0C90028 0002711F
	v_add_u32_e32 v31, 64, v31                                 // 000000004CE8: 683E3EC0
	s_nop 0                                                    // 000000004CEC: BF800000
	v_cndmask_b32_e64 v112, v39, v112, s[40:41]                // 000000004CF0: D1000070 00A2E127
	v_cmp_lt_u32_e64 s[40:41], v32, v56                        // 000000004CF8: D0C90028 00027120
	v_add_u32_e32 v32, 64, v32                                 // 000000004D00: 684040C0
	s_nop 0                                                    // 000000004D04: BF800000
	v_cndmask_b32_e64 v113, v39, v113, s[40:41]                // 000000004D08: D1000071 00A2E327
	v_cmp_lt_u32_e64 s[40:41], v33, v56                        // 000000004D10: D0C90028 00027121
	v_add_u32_e32 v33, 64, v33                                 // 000000004D18: 684242C0
	s_nop 0                                                    // 000000004D1C: BF800000
	v_cndmask_b32_e64 v114, v39, v114, s[40:41]                // 000000004D20: D1000072 00A2E527
	v_cmp_lt_u32_e64 s[40:41], v34, v56                        // 000000004D28: D0C90028 00027122
	v_add_u32_e32 v34, 64, v34                                 // 000000004D30: 684444C0
	s_nop 0                                                    // 000000004D34: BF800000
	v_cndmask_b32_e64 v115, v39, v115, s[40:41]                // 000000004D38: D1000073 00A2E727
	v_cmp_lt_u32_e64 s[40:41], v31, v56                        // 000000004D40: D0C90028 0002711F
	v_add_u32_e32 v31, 64, v31                                 // 000000004D48: 683E3EC0
	s_nop 0                                                    // 000000004D4C: BF800000
	v_cndmask_b32_e64 v116, v39, v116, s[40:41]                // 000000004D50: D1000074 00A2E927
	v_cmp_lt_u32_e64 s[40:41], v32, v56                        // 000000004D58: D0C90028 00027120
	v_add_u32_e32 v32, 64, v32                                 // 000000004D60: 684040C0
	s_nop 0                                                    // 000000004D64: BF800000
	v_cndmask_b32_e64 v117, v39, v117, s[40:41]                // 000000004D68: D1000075 00A2EB27
	v_cmp_lt_u32_e64 s[40:41], v33, v56                        // 000000004D70: D0C90028 00027121
	v_add_u32_e32 v33, 64, v33                                 // 000000004D78: 684242C0
	s_nop 0                                                    // 000000004D7C: BF800000
	v_cndmask_b32_e64 v118, v39, v118, s[40:41]                // 000000004D80: D1000076 00A2ED27
	v_cmp_lt_u32_e64 s[40:41], v34, v56                        // 000000004D88: D0C90028 00027122
	v_add_u32_e32 v34, 64, v34                                 // 000000004D90: 684444C0
	s_nop 0                                                    // 000000004D94: BF800000
	v_cndmask_b32_e64 v119, v39, v119, s[40:41]                // 000000004D98: D1000077 00A2EF27
	v_cmp_lt_u32_e64 s[40:41], v31, v56                        // 000000004DA0: D0C90028 0002711F
	v_add_u32_e32 v31, 64, v31                                 // 000000004DA8: 683E3EC0
	s_nop 0                                                    // 000000004DAC: BF800000
	v_cndmask_b32_e64 v120, v39, v120, s[40:41]                // 000000004DB0: D1000078 00A2F127
	v_cmp_lt_u32_e64 s[40:41], v32, v56                        // 000000004DB8: D0C90028 00027120
	v_add_u32_e32 v32, 64, v32                                 // 000000004DC0: 684040C0
	s_nop 0                                                    // 000000004DC4: BF800000
	v_cndmask_b32_e64 v121, v39, v121, s[40:41]                // 000000004DC8: D1000079 00A2F327
	v_cmp_lt_u32_e64 s[40:41], v33, v56                        // 000000004DD0: D0C90028 00027121
	v_add_u32_e32 v33, 64, v33                                 // 000000004DD8: 684242C0
	s_nop 0                                                    // 000000004DDC: BF800000
	v_cndmask_b32_e64 v122, v39, v122, s[40:41]                // 000000004DE0: D100007A 00A2F527
	v_cmp_lt_u32_e64 s[40:41], v34, v56                        // 000000004DE8: D0C90028 00027122
	v_add_u32_e32 v34, 64, v34                                 // 000000004DF0: 684444C0
	s_nop 0                                                    // 000000004DF4: BF800000
	v_cndmask_b32_e64 v123, v39, v123, s[40:41]                // 000000004DF8: D100007B 00A2F727
	v_cmp_lt_u32_e64 s[40:41], v31, v56                        // 000000004E00: D0C90028 0002711F
	v_add_u32_e32 v31, 64, v31                                 // 000000004E08: 683E3EC0
	s_nop 0                                                    // 000000004E0C: BF800000
	v_cndmask_b32_e64 v124, v39, v124, s[40:41]                // 000000004E10: D100007C 00A2F927
	v_cmp_lt_u32_e64 s[40:41], v32, v56                        // 000000004E18: D0C90028 00027120
	v_add_u32_e32 v32, 64, v32                                 // 000000004E20: 684040C0
	s_nop 0                                                    // 000000004E24: BF800000
	v_cndmask_b32_e64 v125, v39, v125, s[40:41]                // 000000004E28: D100007D 00A2FB27
	v_cmp_lt_u32_e64 s[40:41], v33, v56                        // 000000004E30: D0C90028 00027121
	v_add_u32_e32 v33, 64, v33                                 // 000000004E38: 684242C0
	s_nop 0                                                    // 000000004E3C: BF800000
	v_cndmask_b32_e64 v126, v39, v126, s[40:41]                // 000000004E40: D100007E 00A2FD27
	v_cmp_lt_u32_e64 s[40:41], v34, v56                        // 000000004E48: D0C90028 00027122
	v_add_u32_e32 v34, 64, v34                                 // 000000004E50: 684444C0
	s_nop 0                                                    // 000000004E54: BF800000
	v_cndmask_b32_e64 v127, v39, v127, s[40:41]                // 000000004E58: D100007F 00A2FF27
	s_nop 8                                                    // 000000004E60: BF800008
	v_or_b32_dpp v112, v120, v112 row_shr:8 row_mask:0xf bank_mask:0xf bound_ctrl:1// 000000004E64: 28E0E0FA FF091878
	v_or_b32_dpp v113, v121, v113 row_shr:8 row_mask:0xf bank_mask:0xf bound_ctrl:1// 000000004E6C: 28E2E2FA FF091879
	v_or_b32_dpp v114, v122, v114 row_shr:8 row_mask:0xf bank_mask:0xf bound_ctrl:1// 000000004E74: 28E4E4FA FF09187A
	v_or_b32_dpp v115, v123, v115 row_shr:8 row_mask:0xf bank_mask:0xf bound_ctrl:1// 000000004E7C: 28E6E6FA FF09187B
	v_or_b32_dpp v116, v124, v116 row_shr:8 row_mask:0xf bank_mask:0xf bound_ctrl:1// 000000004E84: 28E8E8FA FF09187C
	v_or_b32_dpp v117, v125, v117 row_shr:8 row_mask:0xf bank_mask:0xf bound_ctrl:1// 000000004E8C: 28EAEAFA FF09187D
	v_or_b32_dpp v118, v126, v118 row_shr:8 row_mask:0xf bank_mask:0xf bound_ctrl:1// 000000004E94: 28ECECFA FF09187E
	v_or_b32_dpp v119, v127, v119 row_shr:8 row_mask:0xf bank_mask:0xf bound_ctrl:1// 000000004E9C: 28EEEEFA FF09187F
	v_mov_b32_e32 v50, v112                                    // 000000004EA4: 7E640370
	v_max3_f32 v50, v112, v113, v50                            // 000000004EA8: D1D30032 04CAE370
	v_max3_f32 v50, v114, v115, v50                            // 000000004EB0: D1D30032 04CAE772
	v_max3_f32 v50, v116, v117, v50                            // 000000004EB8: D1D30032 04CAEB74
	v_max3_f32 v50, v118, v119, v50                            // 000000004EC0: D1D30032 04CAEF76
	ds_write_b32 v11, v50                                      // 000000004EC8: D81A0000 0000320B
	s_waitcnt lgkmcnt(0)                                       // 000000004ED0: BF8CC07F
	s_barrier                                                  // 000000004ED4: BF8A0000
	ds_read_b32 v64, v10                                       // 000000004ED8: D86C0000 4000000A
	ds_read_b32 v65, v10 offset:64                             // 000000004EE0: D86C0040 4100000A
	ds_read_b32 v66, v10 offset:128                            // 000000004EE8: D86C0080 4200000A
	ds_read_b32 v67, v10 offset:192                            // 000000004EF0: D86C00C0 4300000A
	ds_read_b32 v68, v10 offset:256                            // 000000004EF8: D86C0100 4400000A
	ds_read_b32 v69, v10 offset:320                            // 000000004F00: D86C0140 4500000A
	ds_read_b32 v70, v10 offset:384                            // 000000004F08: D86C0180 4600000A
	ds_read_b32 v71, v10 offset:448                            // 000000004F10: D86C01C0 4700000A
	ds_read_b32 v72, v10 offset:512                            // 000000004F18: D86C0200 4800000A
	ds_read_b32 v73, v10 offset:576                            // 000000004F20: D86C0240 4900000A
	ds_read_b32 v74, v10 offset:640                            // 000000004F28: D86C0280 4A00000A
	ds_read_b32 v75, v10 offset:704                            // 000000004F30: D86C02C0 4B00000A
	ds_read_b32 v76, v10 offset:768                            // 000000004F38: D86C0300 4C00000A
	ds_read_b32 v77, v10 offset:832                            // 000000004F40: D86C0340 4D00000A
	ds_read_b32 v78, v10 offset:896                            // 000000004F48: D86C0380 4E00000A
	ds_read_b32 v79, v10 offset:960                            // 000000004F50: D86C03C0 4F00000A
	s_waitcnt lgkmcnt(0)                                       // 000000004F58: BF8CC07F
	v_max3_f32 v50, v64, v65, v50                              // 000000004F5C: D1D30032 04CA8340
	v_max3_f32 v50, v66, v67, v50                              // 000000004F64: D1D30032 04CA8742
	v_max3_f32 v50, v68, v69, v50                              // 000000004F6C: D1D30032 04CA8B44
	v_max3_f32 v50, v70, v71, v50                              // 000000004F74: D1D30032 04CA8F46
	v_max3_f32 v50, v72, v73, v50                              // 000000004F7C: D1D30032 04CA9348
	v_max3_f32 v50, v74, v75, v50                              // 000000004F84: D1D30032 04CA974A
	v_max3_f32 v50, v76, v77, v50                              // 000000004F8C: D1D30032 04CA9B4C
	v_max3_f32 v50, v78, v79, v50                              // 000000004F94: D1D30032 04CA9F4E
	v_cmp_eq_u32_e64 s[40:41], v55, v14                        // 000000004F9C: D0CA0028 00021D37
	s_nop 1                                                    // 000000004FA4: BF800001
	v_mov_b32_dpp v39, v50 row_ror:8 row_mask:0xf bank_mask:0xf// 000000004FA8: 7E4E02FA FF012832
	v_max_f32_e32 v50, v50, v39                                // 000000004FB0: 16644F32
	v_max_f32_e32 v16, v50, v14                                // 000000004FB4: 16201D32
	v_sub_f32_e32 v51, v14, v16                                // 000000004FB8: 0466210E
	v_cndmask_b32_e64 v51, v51, 0, s[40:41]                    // 000000004FBC: D1000033 00A10133
	v_mov_b32_e32 v14, v16                                     // 000000004FC4: 7E1C0310
	v_mul_f32_e32 v53, s64, v16                                // 000000004FC8: 0A6A2040
	v_mul_f32_e32 v51, s64, v51                                // 000000004FCC: 0A666640
	v_exp_f32_e32 v51, v51                                     // 000000004FD0: 7E664133
	v_fma_f32 v112, v112, s64, -v53                            // 000000004FD4: D1CB0070 84D48170
	v_fma_f32 v113, v113, s64, -v53                            // 000000004FDC: D1CB0071 84D48171
	v_fma_f32 v114, v114, s64, -v53                            // 000000004FE4: D1CB0072 84D48172
	v_fma_f32 v115, v115, s64, -v53                            // 000000004FEC: D1CB0073 84D48173
	v_fma_f32 v116, v116, s64, -v53                            // 000000004FF4: D1CB0074 84D48174
	v_fma_f32 v117, v117, s64, -v53                            // 000000004FFC: D1CB0075 84D48175
	v_fma_f32 v118, v118, s64, -v53                            // 000000005004: D1CB0076 84D48176
	v_fma_f32 v119, v119, s64, -v53                            // 00000000500C: D1CB0077 84D48177
	v_exp_f32_e32 v112, v112                                   // 000000005014: 7EE04170
	v_exp_f32_e32 v113, v113                                   // 000000005018: 7EE24171
	v_exp_f32_e32 v114, v114                                   // 00000000501C: 7EE44172
	v_exp_f32_e32 v115, v115                                   // 000000005020: 7EE64173
	v_exp_f32_e32 v116, v116                                   // 000000005024: 7EE84174
	v_exp_f32_e32 v117, v117                                   // 000000005028: 7EEA4175
	v_exp_f32_e32 v118, v118                                   // 00000000502C: 7EEC4176
	v_exp_f32_e32 v119, v119                                   // 000000005030: 7EEE4177
	v_mul_f32_e32 v43, v51, v43                                // 000000005034: 0A565733
	v_mov_b32_e32 v45, v112                                    // 000000005038: 7E5A0370
	v_add_f32_e32 v45, v113, v45                               // 00000000503C: 025A5B71
	v_add_f32_e32 v45, v114, v45                               // 000000005040: 025A5B72
	v_add_f32_e32 v45, v115, v45                               // 000000005044: 025A5B73
	v_add_f32_e32 v45, v116, v45                               // 000000005048: 025A5B74
	v_add_f32_e32 v45, v117, v45                               // 00000000504C: 025A5B75
	v_add_f32_e32 v45, v118, v45                               // 000000005050: 025A5B76
	v_add_f32_e32 v45, v119, v45                               // 000000005054: 025A5B77
	v_add_f32_e32 v43, v45, v43                                // 000000005058: 0256572D
	v_cvt_pkrtz_f16_f32 v39, v112, v113                        // 00000000505C: D2960027 0002E370
	v_mov_b32_e32 v112, v39                                    // 000000005064: 7EE00327
	v_cvt_pkrtz_f16_f32 v39, v114, v115                        // 000000005068: D2960027 0002E772
	v_mov_b32_e32 v113, v39                                    // 000000005070: 7EE20327
	v_cvt_pkrtz_f16_f32 v39, v116, v117                        // 000000005074: D2960027 0002EB74
	v_mov_b32_e32 v114, v39                                    // 00000000507C: 7EE40327
	v_cvt_pkrtz_f16_f32 v39, v118, v119                        // 000000005080: D2960027 0002EF76
	v_mov_b32_e32 v115, v39                                    // 000000005088: 7EE60327
	ds_write_b64 v13, v[112:113] offset:4096                   // 00000000508C: D89A1000 0000700D
	ds_write_b64 v13, v[114:115] offset:6144                   // 000000005094: D89A1800 0000720D
	s_waitcnt lgkmcnt(0)                                       // 00000000509C: BF8CC07F
	s_barrier                                                  // 0000000050A0: BF8A0000
	ds_read_b64 v[112:113], v12 offset:4096                    // 0000000050A4: D8EC1000 7000000C
	ds_read_b64 v[114:115], v12 offset:4224                    // 0000000050AC: D8EC1080 7200000C
	ds_read_b64 v[116:117], v12 offset:5120                    // 0000000050B4: D8EC1400 7400000C
	ds_read_b64 v[118:119], v12 offset:5248                    // 0000000050BC: D8EC1480 7600000C
	ds_read_b64 v[120:121], v12 offset:6144                    // 0000000050C4: D8EC1800 7800000C
	ds_read_b64 v[122:123], v12 offset:6272                    // 0000000050CC: D8EC1880 7A00000C
	ds_read_b64 v[124:125], v12 offset:7168                    // 0000000050D4: D8EC1C00 7C00000C
	ds_read_b64 v[126:127], v12 offset:7296                    // 0000000050DC: D8EC1C80 7E00000C
	s_waitcnt lgkmcnt(0)                                       // 0000000050E4: BF8CC07F
	v_mov_b32_dpp v128, v112 row_shl:8 row_mask:0xf bank_mask:0xf bound_ctrl:1// 0000000050E8: 7F0002FA FF090870
	v_and_b32_e32 v112, v112, v9                               // 0000000050F0: 26E01370
	v_mov_b32_dpp v129, v113 row_shl:8 row_mask:0xf bank_mask:0xf bound_ctrl:1// 0000000050F4: 7F0202FA FF090871
	v_and_b32_e32 v113, v113, v9                               // 0000000050FC: 26E21371
	v_mov_b32_dpp v130, v114 row_shl:8 row_mask:0xf bank_mask:0xf bound_ctrl:1// 000000005100: 7F0402FA FF090872
	v_and_b32_e32 v114, v114, v9                               // 000000005108: 26E41372
	v_mov_b32_dpp v131, v115 row_shl:8 row_mask:0xf bank_mask:0xf bound_ctrl:1// 00000000510C: 7F0602FA FF090873
	v_and_b32_e32 v115, v115, v9                               // 000000005114: 26E61373
	v_mov_b32_dpp v132, v116 row_shl:8 row_mask:0xf bank_mask:0xf bound_ctrl:1// 000000005118: 7F0802FA FF090874
	v_and_b32_e32 v116, v116, v9                               // 000000005120: 26E81374
	v_mov_b32_dpp v133, v117 row_shl:8 row_mask:0xf bank_mask:0xf bound_ctrl:1// 000000005124: 7F0A02FA FF090875
	v_and_b32_e32 v117, v117, v9                               // 00000000512C: 26EA1375
	v_mov_b32_dpp v134, v118 row_shl:8 row_mask:0xf bank_mask:0xf bound_ctrl:1// 000000005130: 7F0C02FA FF090876
	v_and_b32_e32 v118, v118, v9                               // 000000005138: 26EC1376
	v_mov_b32_dpp v135, v119 row_shl:8 row_mask:0xf bank_mask:0xf bound_ctrl:1// 00000000513C: 7F0E02FA FF090877
	v_and_b32_e32 v119, v119, v9                               // 000000005144: 26EE1377
	v_mov_b32_dpp v136, v120 row_shl:8 row_mask:0xf bank_mask:0xf bound_ctrl:1// 000000005148: 7F1002FA FF090878
	v_and_b32_e32 v120, v120, v9                               // 000000005150: 26F01378
	v_mov_b32_dpp v137, v121 row_shl:8 row_mask:0xf bank_mask:0xf bound_ctrl:1// 000000005154: 7F1202FA FF090879
	v_and_b32_e32 v121, v121, v9                               // 00000000515C: 26F21379
	v_mov_b32_dpp v138, v122 row_shl:8 row_mask:0xf bank_mask:0xf bound_ctrl:1// 000000005160: 7F1402FA FF09087A
	v_and_b32_e32 v122, v122, v9                               // 000000005168: 26F4137A
	v_mov_b32_dpp v139, v123 row_shl:8 row_mask:0xf bank_mask:0xf bound_ctrl:1// 00000000516C: 7F1602FA FF09087B
	v_and_b32_e32 v123, v123, v9                               // 000000005174: 26F6137B
	v_mov_b32_dpp v140, v124 row_shl:8 row_mask:0xf bank_mask:0xf bound_ctrl:1// 000000005178: 7F1802FA FF09087C
	v_and_b32_e32 v124, v124, v9                               // 000000005180: 26F8137C
	v_mov_b32_dpp v141, v125 row_shl:8 row_mask:0xf bank_mask:0xf bound_ctrl:1// 000000005184: 7F1A02FA FF09087D
	v_and_b32_e32 v125, v125, v9                               // 00000000518C: 26FA137D
	v_mov_b32_dpp v142, v126 row_shl:8 row_mask:0xf bank_mask:0xf bound_ctrl:1// 000000005190: 7F1C02FA FF09087E
	v_and_b32_e32 v126, v126, v9                               // 000000005198: 26FC137E
	v_mov_b32_dpp v143, v127 row_shl:8 row_mask:0xf bank_mask:0xf bound_ctrl:1// 00000000519C: 7F1E02FA FF09087F
	v_and_b32_e32 v127, v127, v9                               // 0000000051A4: 26FE137F
	v_mul_f32_e32 v176, v51, v176                              // 0000000051A8: 0B616133
	v_mul_f32_e32 v177, v51, v177                              // 0000000051AC: 0B636333
	v_mul_f32_e32 v178, v51, v178                              // 0000000051B0: 0B656533
	v_mul_f32_e32 v179, v51, v179                              // 0000000051B4: 0B676733
	v_mul_f32_e32 v180, v51, v180                              // 0000000051B8: 0B696933
	v_mul_f32_e32 v181, v51, v181                              // 0000000051BC: 0B6B6B33
	v_mul_f32_e32 v182, v51, v182                              // 0000000051C0: 0B6D6D33
	v_mul_f32_e32 v183, v51, v183                              // 0000000051C4: 0B6F6F33
	s_waitcnt vmcnt(0)                                         // 0000000051C8: BF8C0F70
	s_barrier                                                  // 0000000051CC: BF8A0000
	v_mfma_f32_16x16x16_f16 v[176:179], a[128:129], v[112:113], v[176:179]// 0000000051D0: D3CD00B0 0EC2E180
	v_mfma_f32_16x16x16_f16 v[176:179], a[130:131], v[114:115], v[176:179]// 0000000051D8: D3CD00B0 0EC2E582
	v_mfma_f32_16x16x16_f16 v[176:179], a[132:133], v[116:117], v[176:179]// 0000000051E0: D3CD00B0 0EC2E984
	v_mfma_f32_16x16x16_f16 v[176:179], a[134:135], v[118:119], v[176:179]// 0000000051E8: D3CD00B0 0EC2ED86
	v_mfma_f32_16x16x16_f16 v[176:179], a[136:137], v[120:121], v[176:179]// 0000000051F0: D3CD00B0 0EC2F188
	v_mfma_f32_16x16x16_f16 v[176:179], a[138:139], v[122:123], v[176:179]// 0000000051F8: D3CD00B0 0EC2F58A
	v_mfma_f32_16x16x16_f16 v[176:179], a[140:141], v[124:125], v[176:179]// 000000005200: D3CD00B0 0EC2F98C
	v_mfma_f32_16x16x16_f16 v[176:179], a[142:143], v[126:127], v[176:179]// 000000005208: D3CD00B0 0EC2FD8E
	v_mfma_f32_16x16x16_f16 v[176:179], a[144:145], v[128:129], v[176:179]// 000000005210: D3CD00B0 0EC30190
	v_mfma_f32_16x16x16_f16 v[176:179], a[146:147], v[130:131], v[176:179]// 000000005218: D3CD00B0 0EC30592
	v_mfma_f32_16x16x16_f16 v[176:179], a[148:149], v[132:133], v[176:179]// 000000005220: D3CD00B0 0EC30994
	v_mfma_f32_16x16x16_f16 v[176:179], a[150:151], v[134:135], v[176:179]// 000000005228: D3CD00B0 0EC30D96
	v_mfma_f32_16x16x16_f16 v[176:179], a[152:153], v[136:137], v[176:179]// 000000005230: D3CD00B0 0EC31198
	v_mfma_f32_16x16x16_f16 v[176:179], a[154:155], v[138:139], v[176:179]// 000000005238: D3CD00B0 0EC3159A
	v_mfma_f32_16x16x16_f16 v[176:179], a[156:157], v[140:141], v[176:179]// 000000005240: D3CD00B0 0EC3199C
	v_mfma_f32_16x16x16_f16 v[176:179], a[158:159], v[142:143], v[176:179]// 000000005248: D3CD00B0 0EC31D9E
	v_mfma_f32_16x16x16_f16 v[180:183], a[160:161], v[112:113], v[180:183]// 000000005250: D3CD00B4 0ED2E1A0
	v_mfma_f32_16x16x16_f16 v[180:183], a[162:163], v[114:115], v[180:183]// 000000005258: D3CD00B4 0ED2E5A2
	v_mfma_f32_16x16x16_f16 v[180:183], a[164:165], v[116:117], v[180:183]// 000000005260: D3CD00B4 0ED2E9A4
	v_mfma_f32_16x16x16_f16 v[180:183], a[166:167], v[118:119], v[180:183]// 000000005268: D3CD00B4 0ED2EDA6
	v_mfma_f32_16x16x16_f16 v[180:183], a[168:169], v[120:121], v[180:183]// 000000005270: D3CD00B4 0ED2F1A8
	v_mfma_f32_16x16x16_f16 v[180:183], a[170:171], v[122:123], v[180:183]// 000000005278: D3CD00B4 0ED2F5AA
	v_mfma_f32_16x16x16_f16 v[180:183], a[172:173], v[124:125], v[180:183]// 000000005280: D3CD00B4 0ED2F9AC
	v_mfma_f32_16x16x16_f16 v[180:183], a[174:175], v[126:127], v[180:183]// 000000005288: D3CD00B4 0ED2FDAE
	v_mfma_f32_16x16x16_f16 v[180:183], a[176:177], v[128:129], v[180:183]// 000000005290: D3CD00B4 0ED301B0
	v_mfma_f32_16x16x16_f16 v[180:183], a[178:179], v[130:131], v[180:183]// 000000005298: D3CD00B4 0ED305B2
	v_mfma_f32_16x16x16_f16 v[180:183], a[180:181], v[132:133], v[180:183]// 0000000052A0: D3CD00B4 0ED309B4
	v_mfma_f32_16x16x16_f16 v[180:183], a[182:183], v[134:135], v[180:183]// 0000000052A8: D3CD00B4 0ED30DB6
	v_mfma_f32_16x16x16_f16 v[180:183], a[184:185], v[136:137], v[180:183]// 0000000052B0: D3CD00B4 0ED311B8
	v_mfma_f32_16x16x16_f16 v[180:183], a[186:187], v[138:139], v[180:183]// 0000000052B8: D3CD00B4 0ED315BA
	v_mfma_f32_16x16x16_f16 v[180:183], a[188:189], v[140:141], v[180:183]// 0000000052C0: D3CD00B4 0ED319BC
	v_mfma_f32_16x16x16_f16 v[180:183], a[190:191], v[142:143], v[180:183]// 0000000052C8: D3CD00B4 0ED31DBE
	s_nop 8                                                    // 0000000052D0: BF800008
	s_branch label_0E03                                        // 0000000052D4: BF8201CC

00000000000052d8 <label_0C37>:
	s_waitcnt vmcnt(16) lgkmcnt(0)                             // 0000000052D8: BF8C4070
	s_barrier                                                  // 0000000052DC: BF8A0000
	v_mfma_f32_16x16x16_f16 v[112:115], a[64:65], v[80:81], 0  // 0000000052E0: D3CD0070 0A02A140
	v_mfma_f32_16x16x16_f16 v[112:115], a[66:67], v[82:83], v[112:115]// 0000000052E8: D3CD0070 0DC2A542
	v_mfma_f32_16x16x16_f16 v[112:115], a[68:69], v[84:85], v[112:115]// 0000000052F0: D3CD0070 0DC2A944
	v_mfma_f32_16x16x16_f16 v[112:115], a[70:71], v[86:87], v[112:115]// 0000000052F8: D3CD0070 0DC2AD46
	v_mfma_f32_16x16x16_f16 v[112:115], a[72:73], v[88:89], v[112:115]// 000000005300: D3CD0070 0DC2B148
	v_mfma_f32_16x16x16_f16 v[112:115], a[74:75], v[90:91], v[112:115]// 000000005308: D3CD0070 0DC2B54A
	v_mfma_f32_16x16x16_f16 v[112:115], a[76:77], v[92:93], v[112:115]// 000000005310: D3CD0070 0DC2B94C
	v_mfma_f32_16x16x16_f16 v[112:115], a[78:79], v[94:95], v[112:115]// 000000005318: D3CD0070 0DC2BD4E
	v_mfma_f32_16x16x16_f16 v[116:119], a[80:81], v[80:81], 0  // 000000005320: D3CD0074 0A02A150
	v_mfma_f32_16x16x16_f16 v[116:119], a[82:83], v[82:83], v[116:119]// 000000005328: D3CD0074 0DD2A552
	v_mfma_f32_16x16x16_f16 v[116:119], a[84:85], v[84:85], v[116:119]// 000000005330: D3CD0074 0DD2A954
	v_mfma_f32_16x16x16_f16 v[116:119], a[86:87], v[86:87], v[116:119]// 000000005338: D3CD0074 0DD2AD56
	v_mfma_f32_16x16x16_f16 v[116:119], a[88:89], v[88:89], v[116:119]// 000000005340: D3CD0074 0DD2B158
	v_mfma_f32_16x16x16_f16 v[116:119], a[90:91], v[90:91], v[116:119]// 000000005348: D3CD0074 0DD2B55A
	v_mfma_f32_16x16x16_f16 v[116:119], a[92:93], v[92:93], v[116:119]// 000000005350: D3CD0074 0DD2B95C
	v_mfma_f32_16x16x16_f16 v[116:119], a[94:95], v[94:95], v[116:119]// 000000005358: D3CD0074 0DD2BD5E
	v_mfma_f32_16x16x16_f16 v[120:123], a[96:97], v[80:81], 0  // 000000005360: D3CD0078 0A02A160
	v_mfma_f32_16x16x16_f16 v[120:123], a[98:99], v[82:83], v[120:123]// 000000005368: D3CD0078 0DE2A562
	v_mfma_f32_16x16x16_f16 v[120:123], a[100:101], v[84:85], v[120:123]// 000000005370: D3CD0078 0DE2A964
	v_mfma_f32_16x16x16_f16 v[120:123], a[102:103], v[86:87], v[120:123]// 000000005378: D3CD0078 0DE2AD66
	v_mfma_f32_16x16x16_f16 v[120:123], a[104:105], v[88:89], v[120:123]// 000000005380: D3CD0078 0DE2B168
	v_mfma_f32_16x16x16_f16 v[120:123], a[106:107], v[90:91], v[120:123]// 000000005388: D3CD0078 0DE2B56A
	v_mfma_f32_16x16x16_f16 v[120:123], a[108:109], v[92:93], v[120:123]// 000000005390: D3CD0078 0DE2B96C
	v_mfma_f32_16x16x16_f16 v[120:123], a[110:111], v[94:95], v[120:123]// 000000005398: D3CD0078 0DE2BD6E
	v_mfma_f32_16x16x16_f16 v[124:127], a[112:113], v[80:81], 0// 0000000053A0: D3CD007C 0A02A170
	v_mfma_f32_16x16x16_f16 v[124:127], a[114:115], v[82:83], v[124:127]// 0000000053A8: D3CD007C 0DF2A572
	v_mfma_f32_16x16x16_f16 v[124:127], a[116:117], v[84:85], v[124:127]// 0000000053B0: D3CD007C 0DF2A974
	v_mfma_f32_16x16x16_f16 v[124:127], a[118:119], v[86:87], v[124:127]// 0000000053B8: D3CD007C 0DF2AD76
	v_mfma_f32_16x16x16_f16 v[124:127], a[120:121], v[88:89], v[124:127]// 0000000053C0: D3CD007C 0DF2B178
	v_mfma_f32_16x16x16_f16 v[124:127], a[122:123], v[90:91], v[124:127]// 0000000053C8: D3CD007C 0DF2B57A
	v_mfma_f32_16x16x16_f16 v[124:127], a[124:125], v[92:93], v[124:127]// 0000000053D0: D3CD007C 0DF2B97C
	v_mfma_f32_16x16x16_f16 v[124:127], a[126:127], v[94:95], v[124:127]// 0000000053D8: D3CD007C 0DF2BD7E
	s_nop 8                                                    // 0000000053E0: BF800008
	s_and_b32 s60, s72, 0xff                                   // 0000000053E4: 863CFF48 000000FF
	v_mov_b32_e32 v56, s60                                     // 0000000053EC: 7E70023C
	v_lshrrev_b32_e32 v31, 4, v0                               // 0000000053F0: 203E0084
	v_mul_i32_i24_e32 v31, 4, v31                              // 0000000053F4: 0C3E3E84
	s_mul_i32 s60, s7, 16                                      // 0000000053F8: 923C9007
	v_add_u32_e32 v31, s60, v31                                // 0000000053FC: 683E3E3C
	v_add_u32_e32 v32, 1, v31                                  // 000000005400: 68403E81
	v_add_u32_e32 v33, 2, v31                                  // 000000005404: 68423E82
	v_add_u32_e32 v34, 3, v31                                  // 000000005408: 68443E83
	v_and_b32_e32 v39, v55, v9                                 // 00000000540C: 264E1337
	v_cmp_lt_u32_e64 s[40:41], v31, v56                        // 000000005410: D0C90028 0002711F
	v_add_u32_e32 v31, 64, v31                                 // 000000005418: 683E3EC0
	s_nop 0                                                    // 00000000541C: BF800000
	v_cndmask_b32_e64 v112, v39, v112, s[40:41]                // 000000005420: D1000070 00A2E127
	v_cmp_lt_u32_e64 s[40:41], v32, v56                        // 000000005428: D0C90028 00027120
	v_add_u32_e32 v32, 64, v32                                 // 000000005430: 684040C0
	s_nop 0                                                    // 000000005434: BF800000
	v_cndmask_b32_e64 v113, v39, v113, s[40:41]                // 000000005438: D1000071 00A2E327
	v_cmp_lt_u32_e64 s[40:41], v33, v56                        // 000000005440: D0C90028 00027121
	v_add_u32_e32 v33, 64, v33                                 // 000000005448: 684242C0
	s_nop 0                                                    // 00000000544C: BF800000
	v_cndmask_b32_e64 v114, v39, v114, s[40:41]                // 000000005450: D1000072 00A2E527
	v_cmp_lt_u32_e64 s[40:41], v34, v56                        // 000000005458: D0C90028 00027122
	v_add_u32_e32 v34, 64, v34                                 // 000000005460: 684444C0
	s_nop 0                                                    // 000000005464: BF800000
	v_cndmask_b32_e64 v115, v39, v115, s[40:41]                // 000000005468: D1000073 00A2E727
	v_cmp_lt_u32_e64 s[40:41], v31, v56                        // 000000005470: D0C90028 0002711F
	v_add_u32_e32 v31, 64, v31                                 // 000000005478: 683E3EC0
	s_nop 0                                                    // 00000000547C: BF800000
	v_cndmask_b32_e64 v116, v39, v116, s[40:41]                // 000000005480: D1000074 00A2E927
	v_cmp_lt_u32_e64 s[40:41], v32, v56                        // 000000005488: D0C90028 00027120
	v_add_u32_e32 v32, 64, v32                                 // 000000005490: 684040C0
	s_nop 0                                                    // 000000005494: BF800000
	v_cndmask_b32_e64 v117, v39, v117, s[40:41]                // 000000005498: D1000075 00A2EB27
	v_cmp_lt_u32_e64 s[40:41], v33, v56                        // 0000000054A0: D0C90028 00027121
	v_add_u32_e32 v33, 64, v33                                 // 0000000054A8: 684242C0
	s_nop 0                                                    // 0000000054AC: BF800000
	v_cndmask_b32_e64 v118, v39, v118, s[40:41]                // 0000000054B0: D1000076 00A2ED27
	v_cmp_lt_u32_e64 s[40:41], v34, v56                        // 0000000054B8: D0C90028 00027122
	v_add_u32_e32 v34, 64, v34                                 // 0000000054C0: 684444C0
	s_nop 0                                                    // 0000000054C4: BF800000
	v_cndmask_b32_e64 v119, v39, v119, s[40:41]                // 0000000054C8: D1000077 00A2EF27
	v_cmp_lt_u32_e64 s[40:41], v31, v56                        // 0000000054D0: D0C90028 0002711F
	v_add_u32_e32 v31, 64, v31                                 // 0000000054D8: 683E3EC0
	s_nop 0                                                    // 0000000054DC: BF800000
	v_cndmask_b32_e64 v120, v39, v120, s[40:41]                // 0000000054E0: D1000078 00A2F127
	v_cmp_lt_u32_e64 s[40:41], v32, v56                        // 0000000054E8: D0C90028 00027120
	v_add_u32_e32 v32, 64, v32                                 // 0000000054F0: 684040C0
	s_nop 0                                                    // 0000000054F4: BF800000
	v_cndmask_b32_e64 v121, v39, v121, s[40:41]                // 0000000054F8: D1000079 00A2F327
	v_cmp_lt_u32_e64 s[40:41], v33, v56                        // 000000005500: D0C90028 00027121
	v_add_u32_e32 v33, 64, v33                                 // 000000005508: 684242C0
	s_nop 0                                                    // 00000000550C: BF800000
	v_cndmask_b32_e64 v122, v39, v122, s[40:41]                // 000000005510: D100007A 00A2F527
	v_cmp_lt_u32_e64 s[40:41], v34, v56                        // 000000005518: D0C90028 00027122
	v_add_u32_e32 v34, 64, v34                                 // 000000005520: 684444C0
	s_nop 0                                                    // 000000005524: BF800000
	v_cndmask_b32_e64 v123, v39, v123, s[40:41]                // 000000005528: D100007B 00A2F727
	v_cmp_lt_u32_e64 s[40:41], v31, v56                        // 000000005530: D0C90028 0002711F
	v_add_u32_e32 v31, 64, v31                                 // 000000005538: 683E3EC0
	s_nop 0                                                    // 00000000553C: BF800000
	v_cndmask_b32_e64 v124, v39, v124, s[40:41]                // 000000005540: D100007C 00A2F927
	v_cmp_lt_u32_e64 s[40:41], v32, v56                        // 000000005548: D0C90028 00027120
	v_add_u32_e32 v32, 64, v32                                 // 000000005550: 684040C0
	s_nop 0                                                    // 000000005554: BF800000
	v_cndmask_b32_e64 v125, v39, v125, s[40:41]                // 000000005558: D100007D 00A2FB27
	v_cmp_lt_u32_e64 s[40:41], v33, v56                        // 000000005560: D0C90028 00027121
	v_add_u32_e32 v33, 64, v33                                 // 000000005568: 684242C0
	s_nop 0                                                    // 00000000556C: BF800000
	v_cndmask_b32_e64 v126, v39, v126, s[40:41]                // 000000005570: D100007E 00A2FD27
	v_cmp_lt_u32_e64 s[40:41], v34, v56                        // 000000005578: D0C90028 00027122
	v_add_u32_e32 v34, 64, v34                                 // 000000005580: 684444C0
	s_nop 0                                                    // 000000005584: BF800000
	v_cndmask_b32_e64 v127, v39, v127, s[40:41]                // 000000005588: D100007F 00A2FF27
	s_nop 8                                                    // 000000005590: BF800008
	v_or_b32_dpp v112, v120, v112 row_shr:8 row_mask:0xf bank_mask:0xf bound_ctrl:1// 000000005594: 28E0E0FA FF091878
	v_or_b32_dpp v113, v121, v113 row_shr:8 row_mask:0xf bank_mask:0xf bound_ctrl:1// 00000000559C: 28E2E2FA FF091879
	v_or_b32_dpp v114, v122, v114 row_shr:8 row_mask:0xf bank_mask:0xf bound_ctrl:1// 0000000055A4: 28E4E4FA FF09187A
	v_or_b32_dpp v115, v123, v115 row_shr:8 row_mask:0xf bank_mask:0xf bound_ctrl:1// 0000000055AC: 28E6E6FA FF09187B
	v_or_b32_dpp v116, v124, v116 row_shr:8 row_mask:0xf bank_mask:0xf bound_ctrl:1// 0000000055B4: 28E8E8FA FF09187C
	v_or_b32_dpp v117, v125, v117 row_shr:8 row_mask:0xf bank_mask:0xf bound_ctrl:1// 0000000055BC: 28EAEAFA FF09187D
	v_or_b32_dpp v118, v126, v118 row_shr:8 row_mask:0xf bank_mask:0xf bound_ctrl:1// 0000000055C4: 28ECECFA FF09187E
	v_or_b32_dpp v119, v127, v119 row_shr:8 row_mask:0xf bank_mask:0xf bound_ctrl:1// 0000000055CC: 28EEEEFA FF09187F
	v_mov_b32_e32 v50, v112                                    // 0000000055D4: 7E640370
	v_max3_f32 v50, v112, v113, v50                            // 0000000055D8: D1D30032 04CAE370
	v_max3_f32 v50, v114, v115, v50                            // 0000000055E0: D1D30032 04CAE772
	v_max3_f32 v50, v116, v117, v50                            // 0000000055E8: D1D30032 04CAEB74
	v_max3_f32 v50, v118, v119, v50                            // 0000000055F0: D1D30032 04CAEF76
	ds_write_b32 v11, v50                                      // 0000000055F8: D81A0000 0000320B
	s_waitcnt lgkmcnt(0)                                       // 000000005600: BF8CC07F
	s_barrier                                                  // 000000005604: BF8A0000
	ds_read_b32 v64, v10                                       // 000000005608: D86C0000 4000000A
	ds_read_b32 v65, v10 offset:64                             // 000000005610: D86C0040 4100000A
	ds_read_b32 v66, v10 offset:128                            // 000000005618: D86C0080 4200000A
	ds_read_b32 v67, v10 offset:192                            // 000000005620: D86C00C0 4300000A
	ds_read_b32 v68, v10 offset:256                            // 000000005628: D86C0100 4400000A
	ds_read_b32 v69, v10 offset:320                            // 000000005630: D86C0140 4500000A
	ds_read_b32 v70, v10 offset:384                            // 000000005638: D86C0180 4600000A
	ds_read_b32 v71, v10 offset:448                            // 000000005640: D86C01C0 4700000A
	ds_read_b32 v72, v10 offset:512                            // 000000005648: D86C0200 4800000A
	ds_read_b32 v73, v10 offset:576                            // 000000005650: D86C0240 4900000A
	ds_read_b32 v74, v10 offset:640                            // 000000005658: D86C0280 4A00000A
	ds_read_b32 v75, v10 offset:704                            // 000000005660: D86C02C0 4B00000A
	ds_read_b32 v76, v10 offset:768                            // 000000005668: D86C0300 4C00000A
	ds_read_b32 v77, v10 offset:832                            // 000000005670: D86C0340 4D00000A
	ds_read_b32 v78, v10 offset:896                            // 000000005678: D86C0380 4E00000A
	ds_read_b32 v79, v10 offset:960                            // 000000005680: D86C03C0 4F00000A
	s_waitcnt lgkmcnt(0)                                       // 000000005688: BF8CC07F
	v_max3_f32 v50, v64, v65, v50                              // 00000000568C: D1D30032 04CA8340
	v_max3_f32 v50, v66, v67, v50                              // 000000005694: D1D30032 04CA8742
	v_max3_f32 v50, v68, v69, v50                              // 00000000569C: D1D30032 04CA8B44
	v_max3_f32 v50, v70, v71, v50                              // 0000000056A4: D1D30032 04CA8F46
	v_max3_f32 v50, v72, v73, v50                              // 0000000056AC: D1D30032 04CA9348
	v_max3_f32 v50, v74, v75, v50                              // 0000000056B4: D1D30032 04CA974A
	v_max3_f32 v50, v76, v77, v50                              // 0000000056BC: D1D30032 04CA9B4C
	v_max3_f32 v50, v78, v79, v50                              // 0000000056C4: D1D30032 04CA9F4E
	v_cmp_eq_u32_e64 s[40:41], v55, v14                        // 0000000056CC: D0CA0028 00021D37
	s_nop 1                                                    // 0000000056D4: BF800001
	v_mov_b32_dpp v39, v50 row_ror:8 row_mask:0xf bank_mask:0xf// 0000000056D8: 7E4E02FA FF012832
	v_max_f32_e32 v50, v50, v39                                // 0000000056E0: 16644F32
	v_max_f32_e32 v16, v50, v14                                // 0000000056E4: 16201D32
	v_sub_f32_e32 v51, v14, v16                                // 0000000056E8: 0466210E
	v_cndmask_b32_e64 v51, v51, 0, s[40:41]                    // 0000000056EC: D1000033 00A10133
	v_mov_b32_e32 v14, v16                                     // 0000000056F4: 7E1C0310
	v_mul_f32_e32 v53, s64, v16                                // 0000000056F8: 0A6A2040
	v_mul_f32_e32 v51, s64, v51                                // 0000000056FC: 0A666640
	v_exp_f32_e32 v51, v51                                     // 000000005700: 7E664133
	v_fma_f32 v112, v112, s64, -v53                            // 000000005704: D1CB0070 84D48170
	v_fma_f32 v113, v113, s64, -v53                            // 00000000570C: D1CB0071 84D48171
	v_fma_f32 v114, v114, s64, -v53                            // 000000005714: D1CB0072 84D48172
	v_fma_f32 v115, v115, s64, -v53                            // 00000000571C: D1CB0073 84D48173
	v_fma_f32 v116, v116, s64, -v53                            // 000000005724: D1CB0074 84D48174
	v_fma_f32 v117, v117, s64, -v53                            // 00000000572C: D1CB0075 84D48175
	v_fma_f32 v118, v118, s64, -v53                            // 000000005734: D1CB0076 84D48176
	v_fma_f32 v119, v119, s64, -v53                            // 00000000573C: D1CB0077 84D48177
	v_exp_f32_e32 v112, v112                                   // 000000005744: 7EE04170
	v_exp_f32_e32 v113, v113                                   // 000000005748: 7EE24171
	v_exp_f32_e32 v114, v114                                   // 00000000574C: 7EE44172
	v_exp_f32_e32 v115, v115                                   // 000000005750: 7EE64173
	v_exp_f32_e32 v116, v116                                   // 000000005754: 7EE84174
	v_exp_f32_e32 v117, v117                                   // 000000005758: 7EEA4175
	v_exp_f32_e32 v118, v118                                   // 00000000575C: 7EEC4176
	v_exp_f32_e32 v119, v119                                   // 000000005760: 7EEE4177
	v_mul_f32_e32 v43, v51, v43                                // 000000005764: 0A565733
	v_mov_b32_e32 v45, v112                                    // 000000005768: 7E5A0370
	v_add_f32_e32 v45, v113, v45                               // 00000000576C: 025A5B71
	v_add_f32_e32 v45, v114, v45                               // 000000005770: 025A5B72
	v_add_f32_e32 v45, v115, v45                               // 000000005774: 025A5B73
	v_add_f32_e32 v45, v116, v45                               // 000000005778: 025A5B74
	v_add_f32_e32 v45, v117, v45                               // 00000000577C: 025A5B75
	v_add_f32_e32 v45, v118, v45                               // 000000005780: 025A5B76
	v_add_f32_e32 v45, v119, v45                               // 000000005784: 025A5B77
	v_add_f32_e32 v43, v45, v43                                // 000000005788: 0256572D
	v_cvt_pkrtz_f16_f32 v39, v112, v113                        // 00000000578C: D2960027 0002E370
	v_mov_b32_e32 v112, v39                                    // 000000005794: 7EE00327
	v_cvt_pkrtz_f16_f32 v39, v114, v115                        // 000000005798: D2960027 0002E772
	v_mov_b32_e32 v113, v39                                    // 0000000057A0: 7EE20327
	v_cvt_pkrtz_f16_f32 v39, v116, v117                        // 0000000057A4: D2960027 0002EB74
	v_mov_b32_e32 v114, v39                                    // 0000000057AC: 7EE40327
	v_cvt_pkrtz_f16_f32 v39, v118, v119                        // 0000000057B0: D2960027 0002EF76
	v_mov_b32_e32 v115, v39                                    // 0000000057B8: 7EE60327
	ds_write_b64 v13, v[112:113] offset:4096                   // 0000000057BC: D89A1000 0000700D
	ds_write_b64 v13, v[114:115] offset:6144                   // 0000000057C4: D89A1800 0000720D
	s_waitcnt lgkmcnt(0)                                       // 0000000057CC: BF8CC07F
	s_barrier                                                  // 0000000057D0: BF8A0000
	ds_read_b64 v[112:113], v12 offset:4096                    // 0000000057D4: D8EC1000 7000000C
	ds_read_b64 v[114:115], v12 offset:4224                    // 0000000057DC: D8EC1080 7200000C
	ds_read_b64 v[116:117], v12 offset:5120                    // 0000000057E4: D8EC1400 7400000C
	ds_read_b64 v[118:119], v12 offset:5248                    // 0000000057EC: D8EC1480 7600000C
	ds_read_b64 v[120:121], v12 offset:6144                    // 0000000057F4: D8EC1800 7800000C
	ds_read_b64 v[122:123], v12 offset:6272                    // 0000000057FC: D8EC1880 7A00000C
	ds_read_b64 v[124:125], v12 offset:7168                    // 000000005804: D8EC1C00 7C00000C
	ds_read_b64 v[126:127], v12 offset:7296                    // 00000000580C: D8EC1C80 7E00000C
	s_waitcnt lgkmcnt(0)                                       // 000000005814: BF8CC07F
	v_mov_b32_dpp v128, v112 row_shl:8 row_mask:0xf bank_mask:0xf bound_ctrl:1// 000000005818: 7F0002FA FF090870
	v_and_b32_e32 v112, v112, v9                               // 000000005820: 26E01370
	v_mov_b32_dpp v129, v113 row_shl:8 row_mask:0xf bank_mask:0xf bound_ctrl:1// 000000005824: 7F0202FA FF090871
	v_and_b32_e32 v113, v113, v9                               // 00000000582C: 26E21371
	v_mov_b32_dpp v130, v114 row_shl:8 row_mask:0xf bank_mask:0xf bound_ctrl:1// 000000005830: 7F0402FA FF090872
	v_and_b32_e32 v114, v114, v9                               // 000000005838: 26E41372
	v_mov_b32_dpp v131, v115 row_shl:8 row_mask:0xf bank_mask:0xf bound_ctrl:1// 00000000583C: 7F0602FA FF090873
	v_and_b32_e32 v115, v115, v9                               // 000000005844: 26E61373
	v_mov_b32_dpp v132, v116 row_shl:8 row_mask:0xf bank_mask:0xf bound_ctrl:1// 000000005848: 7F0802FA FF090874
	v_and_b32_e32 v116, v116, v9                               // 000000005850: 26E81374
	v_mov_b32_dpp v133, v117 row_shl:8 row_mask:0xf bank_mask:0xf bound_ctrl:1// 000000005854: 7F0A02FA FF090875
	v_and_b32_e32 v117, v117, v9                               // 00000000585C: 26EA1375
	v_mov_b32_dpp v134, v118 row_shl:8 row_mask:0xf bank_mask:0xf bound_ctrl:1// 000000005860: 7F0C02FA FF090876
	v_and_b32_e32 v118, v118, v9                               // 000000005868: 26EC1376
	v_mov_b32_dpp v135, v119 row_shl:8 row_mask:0xf bank_mask:0xf bound_ctrl:1// 00000000586C: 7F0E02FA FF090877
	v_and_b32_e32 v119, v119, v9                               // 000000005874: 26EE1377
	v_mov_b32_dpp v136, v120 row_shl:8 row_mask:0xf bank_mask:0xf bound_ctrl:1// 000000005878: 7F1002FA FF090878
	v_and_b32_e32 v120, v120, v9                               // 000000005880: 26F01378
	v_mov_b32_dpp v137, v121 row_shl:8 row_mask:0xf bank_mask:0xf bound_ctrl:1// 000000005884: 7F1202FA FF090879
	v_and_b32_e32 v121, v121, v9                               // 00000000588C: 26F21379
	v_mov_b32_dpp v138, v122 row_shl:8 row_mask:0xf bank_mask:0xf bound_ctrl:1// 000000005890: 7F1402FA FF09087A
	v_and_b32_e32 v122, v122, v9                               // 000000005898: 26F4137A
	v_mov_b32_dpp v139, v123 row_shl:8 row_mask:0xf bank_mask:0xf bound_ctrl:1// 00000000589C: 7F1602FA FF09087B
	v_and_b32_e32 v123, v123, v9                               // 0000000058A4: 26F6137B
	v_mov_b32_dpp v140, v124 row_shl:8 row_mask:0xf bank_mask:0xf bound_ctrl:1// 0000000058A8: 7F1802FA FF09087C
	v_and_b32_e32 v124, v124, v9                               // 0000000058B0: 26F8137C
	v_mov_b32_dpp v141, v125 row_shl:8 row_mask:0xf bank_mask:0xf bound_ctrl:1// 0000000058B4: 7F1A02FA FF09087D
	v_and_b32_e32 v125, v125, v9                               // 0000000058BC: 26FA137D
	v_mov_b32_dpp v142, v126 row_shl:8 row_mask:0xf bank_mask:0xf bound_ctrl:1// 0000000058C0: 7F1C02FA FF09087E
	v_and_b32_e32 v126, v126, v9                               // 0000000058C8: 26FC137E
	v_mov_b32_dpp v143, v127 row_shl:8 row_mask:0xf bank_mask:0xf bound_ctrl:1// 0000000058CC: 7F1E02FA FF09087F
	v_and_b32_e32 v127, v127, v9                               // 0000000058D4: 26FE137F
	v_mul_f32_e32 v176, v51, v176                              // 0000000058D8: 0B616133
	v_mul_f32_e32 v177, v51, v177                              // 0000000058DC: 0B636333
	v_mul_f32_e32 v178, v51, v178                              // 0000000058E0: 0B656533
	v_mul_f32_e32 v179, v51, v179                              // 0000000058E4: 0B676733
	v_mul_f32_e32 v180, v51, v180                              // 0000000058E8: 0B696933
	v_mul_f32_e32 v181, v51, v181                              // 0000000058EC: 0B6B6B33
	v_mul_f32_e32 v182, v51, v182                              // 0000000058F0: 0B6D6D33
	v_mul_f32_e32 v183, v51, v183                              // 0000000058F4: 0B6F6F33
	s_waitcnt vmcnt(0)                                         // 0000000058F8: BF8C0F70
	s_barrier                                                  // 0000000058FC: BF8A0000
	v_mfma_f32_16x16x16_f16 v[176:179], a[192:193], v[112:113], v[176:179]// 000000005900: D3CD00B0 0EC2E1C0
	v_mfma_f32_16x16x16_f16 v[176:179], a[194:195], v[114:115], v[176:179]// 000000005908: D3CD00B0 0EC2E5C2
	v_mfma_f32_16x16x16_f16 v[176:179], a[196:197], v[116:117], v[176:179]// 000000005910: D3CD00B0 0EC2E9C4
	v_mfma_f32_16x16x16_f16 v[176:179], a[198:199], v[118:119], v[176:179]// 000000005918: D3CD00B0 0EC2EDC6
	v_mfma_f32_16x16x16_f16 v[176:179], a[200:201], v[120:121], v[176:179]// 000000005920: D3CD00B0 0EC2F1C8
	v_mfma_f32_16x16x16_f16 v[176:179], a[202:203], v[122:123], v[176:179]// 000000005928: D3CD00B0 0EC2F5CA
	v_mfma_f32_16x16x16_f16 v[176:179], a[204:205], v[124:125], v[176:179]// 000000005930: D3CD00B0 0EC2F9CC
	v_mfma_f32_16x16x16_f16 v[176:179], a[206:207], v[126:127], v[176:179]// 000000005938: D3CD00B0 0EC2FDCE
	v_mfma_f32_16x16x16_f16 v[176:179], a[208:209], v[128:129], v[176:179]// 000000005940: D3CD00B0 0EC301D0
	v_mfma_f32_16x16x16_f16 v[176:179], a[210:211], v[130:131], v[176:179]// 000000005948: D3CD00B0 0EC305D2
	v_mfma_f32_16x16x16_f16 v[176:179], a[212:213], v[132:133], v[176:179]// 000000005950: D3CD00B0 0EC309D4
	v_mfma_f32_16x16x16_f16 v[176:179], a[214:215], v[134:135], v[176:179]// 000000005958: D3CD00B0 0EC30DD6
	v_mfma_f32_16x16x16_f16 v[176:179], a[216:217], v[136:137], v[176:179]// 000000005960: D3CD00B0 0EC311D8
	v_mfma_f32_16x16x16_f16 v[176:179], a[218:219], v[138:139], v[176:179]// 000000005968: D3CD00B0 0EC315DA
	v_mfma_f32_16x16x16_f16 v[176:179], a[220:221], v[140:141], v[176:179]// 000000005970: D3CD00B0 0EC319DC
	v_mfma_f32_16x16x16_f16 v[176:179], a[222:223], v[142:143], v[176:179]// 000000005978: D3CD00B0 0EC31DDE
	v_mfma_f32_16x16x16_f16 v[180:183], a[224:225], v[112:113], v[180:183]// 000000005980: D3CD00B4 0ED2E1E0
	v_mfma_f32_16x16x16_f16 v[180:183], a[226:227], v[114:115], v[180:183]// 000000005988: D3CD00B4 0ED2E5E2
	v_mfma_f32_16x16x16_f16 v[180:183], a[228:229], v[116:117], v[180:183]// 000000005990: D3CD00B4 0ED2E9E4
	v_mfma_f32_16x16x16_f16 v[180:183], a[230:231], v[118:119], v[180:183]// 000000005998: D3CD00B4 0ED2EDE6
	v_mfma_f32_16x16x16_f16 v[180:183], a[232:233], v[120:121], v[180:183]// 0000000059A0: D3CD00B4 0ED2F1E8
	v_mfma_f32_16x16x16_f16 v[180:183], a[234:235], v[122:123], v[180:183]// 0000000059A8: D3CD00B4 0ED2F5EA
	v_mfma_f32_16x16x16_f16 v[180:183], a[236:237], v[124:125], v[180:183]// 0000000059B0: D3CD00B4 0ED2F9EC
	v_mfma_f32_16x16x16_f16 v[180:183], a[238:239], v[126:127], v[180:183]// 0000000059B8: D3CD00B4 0ED2FDEE
	v_mfma_f32_16x16x16_f16 v[180:183], a[240:241], v[128:129], v[180:183]// 0000000059C0: D3CD00B4 0ED301F0
	v_mfma_f32_16x16x16_f16 v[180:183], a[242:243], v[130:131], v[180:183]// 0000000059C8: D3CD00B4 0ED305F2
	v_mfma_f32_16x16x16_f16 v[180:183], a[244:245], v[132:133], v[180:183]// 0000000059D0: D3CD00B4 0ED309F4
	v_mfma_f32_16x16x16_f16 v[180:183], a[246:247], v[134:135], v[180:183]// 0000000059D8: D3CD00B4 0ED30DF6
	v_mfma_f32_16x16x16_f16 v[180:183], a[248:249], v[136:137], v[180:183]// 0000000059E0: D3CD00B4 0ED311F8
	v_mfma_f32_16x16x16_f16 v[180:183], a[250:251], v[138:139], v[180:183]// 0000000059E8: D3CD00B4 0ED315FA
	v_mfma_f32_16x16x16_f16 v[180:183], a[252:253], v[140:141], v[180:183]// 0000000059F0: D3CD00B4 0ED319FC
	v_mfma_f32_16x16x16_f16 v[180:183], a[254:255], v[142:143], v[180:183]// 0000000059F8: D3CD00B4 0ED31DFE
	s_nop 8                                                    // 000000005A00: BF800008
	s_branch label_0E03                                        // 000000005A04: BF820000

0000000000005a08 <label_0E03>:
	ds_write_b32 v11, v43                                      // 000000005A08: D81A0000 00002B0B
	s_waitcnt lgkmcnt(0)                                       // 000000005A10: BF8CC07F
	s_barrier                                                  // 000000005A14: BF8A0000
	ds_read_b32 v64, v10                                       // 000000005A18: D86C0000 4000000A
	ds_read_b32 v65, v10 offset:64                             // 000000005A20: D86C0040 4100000A
	ds_read_b32 v66, v10 offset:128                            // 000000005A28: D86C0080 4200000A
	ds_read_b32 v67, v10 offset:192                            // 000000005A30: D86C00C0 4300000A
	ds_read_b32 v68, v10 offset:256                            // 000000005A38: D86C0100 4400000A
	ds_read_b32 v69, v10 offset:320                            // 000000005A40: D86C0140 4500000A
	ds_read_b32 v70, v10 offset:384                            // 000000005A48: D86C0180 4600000A
	ds_read_b32 v71, v10 offset:448                            // 000000005A50: D86C01C0 4700000A
	ds_read_b32 v72, v10 offset:512                            // 000000005A58: D86C0200 4800000A
	ds_read_b32 v73, v10 offset:576                            // 000000005A60: D86C0240 4900000A
	ds_read_b32 v74, v10 offset:640                            // 000000005A68: D86C0280 4A00000A
	ds_read_b32 v75, v10 offset:704                            // 000000005A70: D86C02C0 4B00000A
	ds_read_b32 v76, v10 offset:768                            // 000000005A78: D86C0300 4C00000A
	ds_read_b32 v77, v10 offset:832                            // 000000005A80: D86C0340 4D00000A
	ds_read_b32 v78, v10 offset:896                            // 000000005A88: D86C0380 4E00000A
	ds_read_b32 v79, v10 offset:960                            // 000000005A90: D86C03C0 4F00000A
	s_waitcnt lgkmcnt(0)                                       // 000000005A98: BF8CC07F
	v_mov_b32_e32 v43, 0                                       // 000000005A9C: 7E560280
	v_add_f32_e32 v43, v64, v43                                // 000000005AA0: 02565740
	v_add_f32_e32 v43, v65, v43                                // 000000005AA4: 02565741
	v_add_f32_e32 v43, v66, v43                                // 000000005AA8: 02565742
	v_add_f32_e32 v43, v67, v43                                // 000000005AAC: 02565743
	v_add_f32_e32 v43, v68, v43                                // 000000005AB0: 02565744
	v_add_f32_e32 v43, v69, v43                                // 000000005AB4: 02565745
	v_add_f32_e32 v43, v70, v43                                // 000000005AB8: 02565746
	v_add_f32_e32 v43, v71, v43                                // 000000005ABC: 02565747
	v_add_f32_e32 v43, v72, v43                                // 000000005AC0: 02565748
	v_add_f32_e32 v43, v73, v43                                // 000000005AC4: 02565749
	v_add_f32_e32 v43, v74, v43                                // 000000005AC8: 0256574A
	v_add_f32_e32 v43, v75, v43                                // 000000005ACC: 0256574B
	v_add_f32_e32 v43, v76, v43                                // 000000005AD0: 0256574C
	v_add_f32_e32 v43, v77, v43                                // 000000005AD4: 0256574D
	v_add_f32_e32 v43, v78, v43                                // 000000005AD8: 0256574E
	v_add_f32_e32 v43, v79, v43                                // 000000005ADC: 0256574F
	s_nop 1                                                    // 000000005AE0: BF800001
	v_mov_b32_dpp v39, v43 row_ror:8 row_mask:0xf bank_mask:0xf// 000000005AE4: 7E4E02FA FF01282B
	v_add_f32_e32 v43, v43, v39                                // 000000005AEC: 02564F2B
	v_rcp_f32_e32 v43, v43                                     // 000000005AF0: 7E56452B
	s_nop 1                                                    // 000000005AF4: BF800001
	v_mul_f32_e32 v176, v43, v176                              // 000000005AF8: 0B61612B
	v_mul_f32_e32 v177, v43, v177                              // 000000005AFC: 0B63632B
	v_mul_f32_e32 v178, v43, v178                              // 000000005B00: 0B65652B
	v_mul_f32_e32 v179, v43, v179                              // 000000005B04: 0B67672B
	v_mul_f32_e32 v180, v43, v180                              // 000000005B08: 0B69692B
	v_mul_f32_e32 v181, v43, v181                              // 000000005B0C: 0B6B6B2B
	v_mul_f32_e32 v182, v43, v182                              // 000000005B10: 0B6D6D2B
	v_mul_f32_e32 v183, v43, v183                              // 000000005B14: 0B6F6F2B
	v_cvt_pkrtz_f16_f32 v39, v176, v177                        // 000000005B18: D2960027 000363B0
	v_mov_b32_e32 v176, v39                                    // 000000005B20: 7F600327
	v_cvt_pkrtz_f16_f32 v39, v178, v179                        // 000000005B24: D2960027 000367B2
	v_mov_b32_e32 v177, v39                                    // 000000005B2C: 7F620327
	v_cvt_pkrtz_f16_f32 v39, v180, v181                        // 000000005B30: D2960027 00036BB4
	v_mov_b32_e32 v178, v39                                    // 000000005B38: 7F640327
	v_cvt_pkrtz_f16_f32 v39, v182, v183                        // 000000005B3C: D2960027 00036FB6
	v_mov_b32_e32 v179, v39                                    // 000000005B44: 7F660327
	v_lshrrev_b32_e32 v39, 4, v0                               // 000000005B48: 204E0084
	v_mul_i32_i24_e32 v5, 34, v39                              // 000000005B4C: 0C0A4EA2
	v_and_b32_e32 v39, 15, v0                                  // 000000005B50: 264E008F
	v_mul_i32_i24_e32 v40, 2, v39                              // 000000005B54: 0C504E82
	v_add_u32_e32 v5, v40, v5                                  // 000000005B58: 680A0B28
	s_mul_i32 s60, s7, 0x88                                    // 000000005B5C: 923CFF07 00000088
	v_add_u32_e32 v5, s60, v5                                  // 000000005B64: 680A0A3C
	v_lshlrev_b32_e32 v5, 2, v5                                // 000000005B68: 240A0A82
	ds_write_b64 v5, v[176:177] offset:36864                   // 000000005B6C: D89A9000 0000B005
	ds_write_b64 v5, v[178:179] offset:39040                   // 000000005B74: D89A9880 0000B205
	v_lshrrev_b32_e32 v39, 1, v0                               // 000000005B7C: 204E0081
	v_mul_i32_i24_e32 v5, 34, v39                              // 000000005B80: 0C0A4EA2
	v_and_b32_e32 v40, 1, v0                                   // 000000005B84: 26500081
	v_add_u32_e32 v5, v40, v5                                  // 000000005B88: 680A0B28
	s_mul_i32 s60, s7, 2                                       // 000000005B8C: 923C8207
	v_add_u32_e32 v5, s60, v5                                  // 000000005B90: 680A0A3C
	v_lshlrev_b32_e32 v5, 2, v5                                // 000000005B94: 240A0A82
	s_waitcnt lgkmcnt(0)                                       // 000000005B98: BF8CC07F
	s_barrier                                                  // 000000005B9C: BF8A0000
	ds_read_b32 v176, v5 offset:36864                          // 000000005BA0: D86C9000 B0000005
	ds_read_b32 v177, v5 offset:36896                          // 000000005BA8: D86C9020 B1000005
	s_waitcnt lgkmcnt(0)                                       // 000000005BB0: BF8CC07F
	buffer_store_dword v176, v8, s[8:11], 0 offen              // 000000005BB4: E0701000 8002B008
	buffer_store_dword v177, v8, s[8:11], 0 offen offset:1024  // 000000005BBC: E0701400 8002B108
	s_branch label_32C2                                        // 000000005BC4: BF82244F

0000000000005bc8 <label_0E73>:
	s_mul_i32 s60, s3, s65                                     // 000000005BC8: 923C4103
	s_mul_i32 s60, s60, 4                                      // 000000005BCC: 923C843C
	s_add_u32 s24, s60, s24                                    // 000000005BD0: 8018183C
	s_addc_u32 s25, 0, s25                                     // 000000005BD4: 82191980
	s_mov_b32 s56, 64                                          // 000000005BD8: BEB800C0
	s_waitcnt lgkmcnt(0)                                       // 000000005BDC: BF8CC07F
	s_add_u32 s73, s72, 15                                     // 000000005BE0: 80498F48
	s_lshr_b32 s73, s73, 4                                     // 000000005BE4: 8F498449
	s_mul_i32 s60, s73, 4                                      // 000000005BE8: 923C8449
	s_mov_b32 s26, s60                                         // 000000005BEC: BE9A003C
	v_and_b32_e32 v40, 3, v0                                   // 000000005BF0: 26500083
	v_cmp_eq_u32_e64 s[60:61], 0, v40                          // 000000005BF4: D0CA003C 00025080
	v_and_b32_e32 v39, 12, v0                                  // 000000005BFC: 264E008C
	v_add_u32_e32 v1, s7, v39                                  // 000000005C00: 68024E07
	v_cndmask_b32_e64 v1, 0, v1, s[60:61]                      // 000000005C04: D1000001 00F20280
	v_and_b32_e32 v40, 3, v0                                   // 000000005C0C: 26500083
	v_cmp_eq_u32_e64 s[60:61], 0, v40                          // 000000005C10: D0CA003C 00025080
	v_lshrrev_b32_e32 v39, 5, v0                               // 000000005C18: 204E0085
	v_and_b32_e32 v40, 14, v0                                  // 000000005C1C: 2650008E
	v_add_u32_e32 v39, v40, v39                                // 000000005C20: 684E4F28
	v_cndmask_b32_e64 v39, v39, 0, s[60:61]                    // 000000005C24: D1000027 00F10127
	v_add_u32_e32 v1, v1, v39                                  // 000000005C2C: 68024F01
	v_lshlrev_b32_e32 v1, 2, v1                                // 000000005C30: 24020282
	v_writelane_b32 v1, 56, 7                                  // 000000005C34: D28A0001 00010EB8
	v_writelane_b32 v1, 56, 23                                 // 000000005C3C: D28A0001 00012EB8
	v_writelane_b32 v1, 60, 39                                 // 000000005C44: D28A0001 00014EBC
	v_writelane_b32 v1, 60, 55                                 // 000000005C4C: D28A0001 00016EBC
	buffer_load_dword v17, v1, s[24:27], 0 offen               // 000000005C54: E0501000 80061101
	v_add_u32_e32 v1, s56, v1                                  // 000000005C5C: 68020238
	buffer_load_dword v18, v1, s[24:27], 0 offen               // 000000005C60: E0501000 80061201
	s_cmp_le_u32 s73, 32                                       // 000000005C68: BF0BA049
	s_cselect_b32 s56, 0, s56                                  // 000000005C6C: 85383880
	s_mul_i32 s61, s2, s67                                     // 000000005C70: 923D4302
	s_mul_i32 s60, s84, s74                                    // 000000005C74: 923C4A54
	s_add_u32 s60, s60, s61                                    // 000000005C78: 803C3D3C
	s_add_u32 s12, s60, s12                                    // 000000005C7C: 800C0C3C
	s_addc_u32 s13, 0, s13                                     // 000000005C80: 820D0D80
	s_mul_i32 s60, s7, 0x420                                   // 000000005C84: 923CFF07 00000420
	s_add_u32 m0, 0, s60                                       // 000000005C8C: 807C3C80
	s_mul_i32 s60, s7, 0x100                                   // 000000005C90: 923CFF07 00000100
	v_lshlrev_b32_e32 v39, 2, v0                               // 000000005C98: 244E0082
	v_add_u32_e64 v39, v39, s60                                // 000000005C9C: D1340027 00007927
	v_add_u32_e32 v40, 0x400, v39                              // 000000005CA4: 68504EFF 00000400
	buffer_load_dword v39, s[12:15], 0 offen lds               // 000000005CAC: E0511000 80030027
	s_add_u32 m0, m0, 0x100                                    // 000000005CB4: 807CFF7C 00000100
	buffer_load_dword v40, s[12:15], 0 offen lds               // 000000005CBC: E0511000 80030028
	s_add_u32 m0, m0, 0x100                                    // 000000005CC4: 807CFF7C 00000100
	s_add_u32 s12, s74, s12                                    // 000000005CCC: 800C0C4A
	s_addc_u32 s13, 0, s13                                     // 000000005CD0: 820D0D80
	buffer_load_dword v39, s[12:15], 0 offen lds               // 000000005CD4: E0511000 80030027
	s_add_u32 m0, m0, 0x100                                    // 000000005CDC: 807CFF7C 00000100
	buffer_load_dword v40, s[12:15], 0 offen lds               // 000000005CE4: E0511000 80030028
	s_add_u32 m0, m0, 0x100                                    // 000000005CEC: 807CFF7C 00000100
	s_mul_i32 s61, s2, s76                                     // 000000005CF4: 923D4C02
	s_mul_i32 s60, s84, s75                                    // 000000005CF8: 923C4B54
	s_add_u32 s60, s60, s61                                    // 000000005CFC: 803C3D3C
	s_add_u32 s8, s60, s8                                      // 000000005D00: 8008083C
	s_addc_u32 s9, 0, s9                                       // 000000005D04: 82090980
	s_mul_i32 s60, s7, 0x100                                   // 000000005D08: 923CFF07 00000100
	v_lshlrev_b32_e32 v8, 2, v0                                // 000000005D10: 24100082
	v_add_u32_e64 v8, v8, s60                                  // 000000005D14: D1340008 00007908
	s_mov_b32 s70, 0                                           // 000000005D1C: BEC60080
	s_and_b32 s71, s72, 0xffffff00                             // 000000005D20: 8647FF48 FFFFFF00
	v_mov_b32_e32 v54, s68                                     // 000000005D28: 7E6C0244
	v_mov_b32_e32 v9, -1                                       // 000000005D2C: 7E1202C1
	s_mov_b32 s52, 0x7060302                                   // 000000005D30: BEB400FF 07060302
	s_mov_b32 s53, 0x400                                       // 000000005D38: BEB500FF 00000400
	s_mov_b32 s54, 0x40100                                     // 000000005D40: BEB600FF 00040100
	s_mov_b32 s55, 0x4020100                                   // 000000005D48: BEB700FF 04020100
	v_mov_b32_dpp v9, v9 row_shl:8 row_mask:0xf bank_mask:0xf bound_ctrl:1// 000000005D50: 7E1202FA FF090809
	s_mov_b32 s6, 0x3fb8aa3b                                   // 000000005D58: BE8600FF 3FB8AA3B
	v_mov_b32_e32 v14, 0xff800000                              // 000000005D60: 7E1C02FF FF800000
	v_mov_b32_e32 v55, 0xff800000                              // 000000005D68: 7E6E02FF FF800000
	v_mov_b32_e32 v51, 0                                       // 000000005D70: 7E660280
	v_mov_b32_e32 v43, 0                                       // 000000005D74: 7E560280
	v_mov_b32_e32 v20, 0xffff0000                              // 000000005D78: 7E2802FF FFFF0000
	v_mov_b32_e32 v21, 0x7fff0000                              // 000000005D80: 7E2A02FF 7FFF0000
	v_mov_b32_e32 v22, 0x7fff                                  // 000000005D88: 7E2C02FF 00007FFF
	v_add_u32_e32 v1, s56, v1                                  // 000000005D90: 68020238
	v_and_b32_e32 v10, 15, v0                                  // 000000005D94: 2614008F
	v_lshlrev_b32_e32 v10, 2, v10                              // 000000005D98: 24141482
	v_lshlrev_b32_e32 v11, 2, v0                               // 000000005D9C: 24160082
	s_mul_i32 s60, 0x100, s7                                   // 000000005DA0: 923C07FF 00000100
	v_add_u32_e32 v11, s60, v11                                // 000000005DA8: 6816163C
	v_lshrrev_b32_e32 v39, 4, v0                               // 000000005DAC: 204E0084
	v_lshlrev_b32_e32 v40, 6, v39                              // 000000005DB0: 24504E86
	v_and_b32_e32 v39, 15, v0                                  // 000000005DB4: 264E008F
	v_lshlrev_b32_e32 v39, 1, v39                              // 000000005DB8: 244E4E81
	v_add_u32_e32 v40, v39, v40                                // 000000005DBC: 68505127
	v_lshlrev_b32_e32 v12, 2, v40                              // 000000005DC0: 24185082
	v_lshlrev_b32_e32 v39, 3, v0                               // 000000005DC4: 244E0083
	s_mul_i32 s60, 0x200, s7                                   // 000000005DC8: 923C07FF 00000200
	v_add_u32_e64 v13, v39, s60                                // 000000005DD0: D134000D 00007927
	v_lshlrev_b32_e32 v6, 4, v0                                // 000000005DD8: 240C0084
	s_mul_i32 s60, s2, s69                                     // 000000005DDC: 923C4502
	s_add_u32 s16, s60, s16                                    // 000000005DE0: 8010103C
	s_addc_u32 s17, 0, s17                                     // 000000005DE4: 82111180
	v_and_b32_e32 v39, 15, v0                                  // 000000005DE8: 264E008F
	v_lshlrev_b32_e32 v7, 4, v39                               // 000000005DEC: 240E4E84
	v_and_b32_e32 v39, 31, v0                                  // 000000005DF0: 264E009F
	v_lshrrev_b32_e32 v39, 4, v39                              // 000000005DF4: 204E4E84
	v_mul_i32_i24_e32 v39, 0x800, v39                          // 000000005DF8: 0C4E4EFF 00000800
	v_add_u32_e32 v7, v39, v7                                  // 000000005E00: 680E0F27
	s_mul_i32 s61, s2, s69                                     // 000000005E04: 923D4502
	s_mul_i32 s60, s7, 0x100                                   // 000000005E08: 923CFF07 00000100
	s_add_u32 s60, s60, s61                                    // 000000005E10: 803C3D3C
	s_add_u32 s20, s60, s20                                    // 000000005E14: 8014143C
	s_addc_u32 s21, 0, s21                                     // 000000005E18: 82151580
	s_waitcnt vmcnt(4)                                         // 000000005E1C: BF8C0F74
	v_mul_u32_u24_dpp v39, v17, v54 row_newbcast:0 row_mask:0xf bank_mask:0xf// 000000005E20: 104E6CFA FF015011
	v_mul_u32_u24_dpp v40, v17, v54 row_newbcast:4 row_mask:0xf bank_mask:0xf// 000000005E28: 10506CFA FF015411
	v_mul_u32_u24_dpp v41, v17, v54 row_newbcast:8 row_mask:0xf bank_mask:0xf// 000000005E30: 10526CFA FF015811
	v_mul_u32_u24_dpp v42, v17, v54 row_newbcast:12 row_mask:0xf bank_mask:0xf// 000000005E38: 10546CFA FF015C11
	v_add_u32_e32 v23, v39, v6                                 // 000000005E40: 682E0D27
	v_add_u32_e32 v24, v40, v6                                 // 000000005E44: 68300D28
	v_add_u32_e32 v25, v41, v6                                 // 000000005E48: 68320D29
	v_add_u32_e32 v26, v42, v6                                 // 000000005E4C: 68340D2A
	v_mul_u32_u24_dpp v39, v17, v54 row_newbcast:1 row_mask:0xf bank_mask:0xf// 000000005E50: 104E6CFA FF015111
	v_mul_u32_u24_dpp v40, v17, v54 row_newbcast:2 row_mask:0xf bank_mask:0xf// 000000005E58: 10506CFA FF015211
	v_mul_u32_u24_dpp v41, v17, v54 row_newbcast:5 row_mask:0xf bank_mask:0xf// 000000005E60: 10526CFA FF015511
	v_mul_u32_u24_dpp v42, v17, v54 row_newbcast:6 row_mask:0xf bank_mask:0xf// 000000005E68: 10546CFA FF015611
	v_add_u32_e32 v192, v39, v7                                // 000000005E70: 69800F27
	v_add_u32_e32 v193, v40, v7                                // 000000005E74: 69820F28
	v_add_u32_e32 v194, v41, v7                                // 000000005E78: 69840F29
	v_add_u32_e32 v195, v42, v7                                // 000000005E7C: 69860F2A
	v_mul_u32_u24_dpp v39, v17, v54 row_newbcast:9 row_mask:0xf bank_mask:0xf// 000000005E80: 104E6CFA FF015911
	v_mul_u32_u24_dpp v40, v17, v54 row_newbcast:10 row_mask:0xf bank_mask:0xf// 000000005E88: 10506CFA FF015A11
	v_mul_u32_u24_dpp v41, v17, v54 row_newbcast:13 row_mask:0xf bank_mask:0xf// 000000005E90: 10526CFA FF015D11
	v_mul_u32_u24_dpp v42, v17, v54 row_newbcast:7 row_mask:0xf bank_mask:0xf// 000000005E98: 10546CFA FF015711
	v_add_u32_e32 v196, v39, v7                                // 000000005EA0: 69880F27
	v_add_u32_e32 v197, v40, v7                                // 000000005EA4: 698A0F28
	v_add_u32_e32 v198, v41, v7                                // 000000005EA8: 698C0F29
	v_add_u32_e32 v199, v42, v7                                // 000000005EAC: 698E0F2A
	buffer_load_dwordx4 a[0:3], v23, s[16:19], 0 offen         // 000000005EB0: E05C1000 80840017
	buffer_load_dwordx4 a[4:7], v23, s[16:19], 0 offen offset:1024// 000000005EB8: E05C1400 80840417
	buffer_load_dwordx4 a[8:11], v23, s[16:19], 0 offen offset:2048// 000000005EC0: E05C1800 80840817
	buffer_load_dwordx4 a[12:15], v23, s[16:19], 0 offen offset:3072// 000000005EC8: E05C1C00 80840C17
	buffer_load_dwordx4 a[16:19], v24, s[16:19], 0 offen       // 000000005ED0: E05C1000 80841018
	buffer_load_dwordx4 a[20:23], v24, s[16:19], 0 offen offset:1024// 000000005ED8: E05C1400 80841418
	buffer_load_dwordx4 a[24:27], v24, s[16:19], 0 offen offset:2048// 000000005EE0: E05C1800 80841818
	buffer_load_dwordx4 a[28:31], v24, s[16:19], 0 offen offset:3072// 000000005EE8: E05C1C00 80841C18
	buffer_load_dwordx4 a[32:35], v25, s[16:19], 0 offen       // 000000005EF0: E05C1000 80842019
	buffer_load_dwordx4 a[36:39], v25, s[16:19], 0 offen offset:1024// 000000005EF8: E05C1400 80842419
	buffer_load_dwordx4 a[40:43], v25, s[16:19], 0 offen offset:2048// 000000005F00: E05C1800 80842819
	buffer_load_dwordx4 a[44:47], v25, s[16:19], 0 offen offset:3072// 000000005F08: E05C1C00 80842C19
	buffer_load_dwordx4 a[48:51], v26, s[16:19], 0 offen       // 000000005F10: E05C1000 8084301A
	buffer_load_dwordx4 a[52:55], v26, s[16:19], 0 offen offset:1024// 000000005F18: E05C1400 8084341A
	buffer_load_dwordx4 a[56:59], v26, s[16:19], 0 offen offset:2048// 000000005F20: E05C1800 8084381A
	buffer_load_dwordx4 a[60:63], v26, s[16:19], 0 offen offset:3072// 000000005F28: E05C1C00 80843C1A
	buffer_load_dwordx4 a[128:131], v192, s[20:23], 0 offen    // 000000005F30: E05C1000 808580C0
	buffer_load_dwordx4 a[132:135], v193, s[20:23], 0 offen    // 000000005F38: E05C1000 808584C1
	buffer_load_dwordx4 a[136:139], v194, s[20:23], 0 offen    // 000000005F40: E05C1000 808588C2
	buffer_load_dwordx4 a[140:143], v195, s[20:23], 0 offen    // 000000005F48: E05C1000 80858CC3
	buffer_load_dwordx4 a[144:147], v196, s[20:23], 0 offen    // 000000005F50: E05C1000 808590C4
	buffer_load_dwordx4 a[148:151], v197, s[20:23], 0 offen    // 000000005F58: E05C1000 808594C5
	buffer_load_dwordx4 a[152:155], v198, s[20:23], 0 offen    // 000000005F60: E05C1000 808598C6
	buffer_load_dwordx4 a[156:159], v199, s[20:23], 0 offen    // 000000005F68: E05C1000 80859CC7
	buffer_load_dwordx4 a[160:163], v192, s[20:23], 0 offen offset:1024// 000000005F70: E05C1400 8085A0C0
	buffer_load_dwordx4 a[164:167], v193, s[20:23], 0 offen offset:1024// 000000005F78: E05C1400 8085A4C1
	buffer_load_dwordx4 a[168:171], v194, s[20:23], 0 offen offset:1024// 000000005F80: E05C1400 8085A8C2
	buffer_load_dwordx4 a[172:175], v195, s[20:23], 0 offen offset:1024// 000000005F88: E05C1400 8085ACC3
	buffer_load_dwordx4 a[176:179], v196, s[20:23], 0 offen offset:1024// 000000005F90: E05C1400 8085B0C4
	buffer_load_dwordx4 a[180:183], v197, s[20:23], 0 offen offset:1024// 000000005F98: E05C1400 8085B4C5
	buffer_load_dwordx4 a[184:187], v198, s[20:23], 0 offen offset:1024// 000000005FA0: E05C1400 8085B8C6
	buffer_load_dwordx4 a[188:191], v199, s[20:23], 0 offen offset:1024// 000000005FA8: E05C1400 8085BCC7
	v_lshrrev_b32_e32 v39, 4, v0                               // 000000005FB0: 204E0084
	v_lshlrev_b32_e32 v40, 2, v39                              // 000000005FB4: 24504E82
	v_and_b32_e32 v39, 15, v0                                  // 000000005FB8: 264E008F
	v_lshrrev_b32_e32 v41, 2, v39                              // 000000005FBC: 20524E82
	v_lshlrev_b32_e32 v41, 6, v41                              // 000000005FC0: 24525286
	v_add_u32_e32 v40, v41, v40                                // 000000005FC4: 68505129
	v_and_b32_e32 v39, 3, v0                                   // 000000005FC8: 264E0083
	v_mul_i32_i24_e32 v41, 0x108, v39                          // 000000005FCC: 0C524EFF 00000108
	v_add_u32_e32 v40, v41, v40                                // 000000005FD4: 68505129
	v_lshlrev_b32_e32 v4, 2, v40                               // 000000005FD8: 24085082
	s_waitcnt vmcnt(32) lgkmcnt(0)                             // 000000005FDC: BF8C8070
	s_barrier                                                  // 000000005FE0: BF8A0000
	ds_read_b128 v[80:83], v4                                  // 000000005FE4: D9FE0000 50000004
	ds_read_b128 v[84:87], v4 offset:64                        // 000000005FEC: D9FE0040 54000004
	ds_read_b128 v[88:91], v4 offset:128                       // 000000005FF4: D9FE0080 58000004
	ds_read_b128 v[92:95], v4 offset:192                       // 000000005FFC: D9FE00C0 5C000004
	v_mov_b32_e32 v176, 0                                      // 000000006004: 7F600280
	v_mov_b32_e32 v177, 0                                      // 000000006008: 7F620280
	v_mov_b32_e32 v178, 0                                      // 00000000600C: 7F640280
	v_mov_b32_e32 v179, 0                                      // 000000006010: 7F660280
	v_mov_b32_e32 v180, 0                                      // 000000006014: 7F680280
	v_mov_b32_e32 v181, 0                                      // 000000006018: 7F6A0280
	v_mov_b32_e32 v182, 0                                      // 00000000601C: 7F6C0280
	v_mov_b32_e32 v183, 0                                      // 000000006020: 7F6E0280
	s_waitcnt vmcnt(16) lgkmcnt(0)                             // 000000006024: BF8C4070
	s_barrier                                                  // 000000006028: BF8A0000
	v_mul_u32_u24_dpp v39, v18, v54 row_newbcast:0 row_mask:0xf bank_mask:0xf// 00000000602C: 104E6CFA FF015012
	v_mul_u32_u24_dpp v40, v18, v54 row_newbcast:4 row_mask:0xf bank_mask:0xf// 000000006034: 10506CFA FF015412
	v_mul_u32_u24_dpp v41, v18, v54 row_newbcast:8 row_mask:0xf bank_mask:0xf// 00000000603C: 10526CFA FF015812
	v_mul_u32_u24_dpp v42, v18, v54 row_newbcast:12 row_mask:0xf bank_mask:0xf// 000000006044: 10546CFA FF015C12
	v_add_u32_e32 v27, v39, v6                                 // 00000000604C: 68360D27
	v_add_u32_e32 v28, v40, v6                                 // 000000006050: 68380D28
	v_add_u32_e32 v29, v41, v6                                 // 000000006054: 683A0D29
	v_add_u32_e32 v30, v42, v6                                 // 000000006058: 683C0D2A
	v_mul_u32_u24_dpp v39, v18, v54 row_newbcast:1 row_mask:0xf bank_mask:0xf// 00000000605C: 104E6CFA FF015112
	v_mul_u32_u24_dpp v40, v18, v54 row_newbcast:2 row_mask:0xf bank_mask:0xf// 000000006064: 10506CFA FF015212
	v_mul_u32_u24_dpp v41, v18, v54 row_newbcast:5 row_mask:0xf bank_mask:0xf// 00000000606C: 10526CFA FF015512
	v_mul_u32_u24_dpp v42, v18, v54 row_newbcast:6 row_mask:0xf bank_mask:0xf// 000000006074: 10546CFA FF015612
	v_add_u32_e32 v200, v39, v7                                // 00000000607C: 69900F27
	v_add_u32_e32 v201, v40, v7                                // 000000006080: 69920F28
	v_add_u32_e32 v202, v41, v7                                // 000000006084: 69940F29
	v_add_u32_e32 v203, v42, v7                                // 000000006088: 69960F2A
	v_mul_u32_u24_dpp v39, v18, v54 row_newbcast:9 row_mask:0xf bank_mask:0xf// 00000000608C: 104E6CFA FF015912
	v_mul_u32_u24_dpp v40, v18, v54 row_newbcast:10 row_mask:0xf bank_mask:0xf// 000000006094: 10506CFA FF015A12
	v_mul_u32_u24_dpp v41, v18, v54 row_newbcast:13 row_mask:0xf bank_mask:0xf// 00000000609C: 10526CFA FF015D12
	v_mul_u32_u24_dpp v42, v18, v54 row_newbcast:7 row_mask:0xf bank_mask:0xf// 0000000060A4: 10546CFA FF015712
	v_add_u32_e32 v204, v39, v7                                // 0000000060AC: 69980F27
	v_add_u32_e32 v205, v40, v7                                // 0000000060B0: 699A0F28
	v_add_u32_e32 v206, v41, v7                                // 0000000060B4: 699C0F29
	v_add_u32_e32 v207, v42, v7                                // 0000000060B8: 699E0F2A
	s_cmp_lt_u32 s73, 16                                       // 0000000060BC: BF0A9049
	s_cbranch_scc1 label_16F8                                  // 0000000060C0: BF850746
	s_cmp_lt_i32 s7, 2                                         // 0000000060C4: BF048207
	s_cbranch_scc0 label_1356                                  // 0000000060C8: BF8403A2

00000000000060cc <label_0FB4>:
	s_waitcnt vmcnt(16) lgkmcnt(0)                             // 0000000060CC: BF8C4070
	v_mfma_f32_16x16x16_f16 v[112:115], a[0:1], v[80:81], 0    // 0000000060D0: D3CD0070 0A02A100
	v_mfma_f32_16x16x16_f16 v[112:115], a[2:3], v[82:83], v[112:115]// 0000000060D8: D3CD0070 0DC2A502
	buffer_load_dwordx4 a[64:67], v27, s[16:19], 0 offen       // 0000000060E0: E05C1000 8084401B
	v_mfma_f32_16x16x16_f16 v[112:115], a[4:5], v[84:85], v[112:115]// 0000000060E8: D3CD0070 0DC2A904
	v_mfma_f32_16x16x16_f16 v[112:115], a[6:7], v[86:87], v[112:115]// 0000000060F0: D3CD0070 0DC2AD06
	buffer_load_dword v17, v1, s[24:27], 0 offen               // 0000000060F8: E0501000 80061101
	v_mfma_f32_16x16x16_f16 v[112:115], a[8:9], v[88:89], v[112:115]// 000000006100: D3CD0070 0DC2B108
	v_mfma_f32_16x16x16_f16 v[112:115], a[10:11], v[90:91], v[112:115]// 000000006108: D3CD0070 0DC2B50A
	buffer_load_dwordx4 a[68:71], v27, s[16:19], 0 offen offset:1024// 000000006110: E05C1400 8084441B
	v_mfma_f32_16x16x16_f16 v[112:115], a[12:13], v[92:93], v[112:115]// 000000006118: D3CD0070 0DC2B90C
	v_mfma_f32_16x16x16_f16 v[112:115], a[14:15], v[94:95], v[112:115]// 000000006120: D3CD0070 0DC2BD0E
	v_mfma_f32_16x16x16_f16 v[116:119], a[16:17], v[80:81], 0  // 000000006128: D3CD0074 0A02A110
	v_mfma_f32_16x16x16_f16 v[116:119], a[18:19], v[82:83], v[116:119]// 000000006130: D3CD0074 0DD2A512
	buffer_load_dwordx4 a[72:75], v27, s[16:19], 0 offen offset:2048// 000000006138: E05C1800 8084481B
	v_mfma_f32_16x16x16_f16 v[116:119], a[20:21], v[84:85], v[116:119]// 000000006140: D3CD0074 0DD2A914
	v_mfma_f32_16x16x16_f16 v[116:119], a[22:23], v[86:87], v[116:119]// 000000006148: D3CD0074 0DD2AD16
	v_mfma_f32_16x16x16_f16 v[116:119], a[24:25], v[88:89], v[116:119]// 000000006150: D3CD0074 0DD2B118
	v_mfma_f32_16x16x16_f16 v[116:119], a[26:27], v[90:91], v[116:119]// 000000006158: D3CD0074 0DD2B51A
	buffer_load_dwordx4 a[76:79], v27, s[16:19], 0 offen offset:3072// 000000006160: E05C1C00 80844C1B
	v_mfma_f32_16x16x16_f16 v[116:119], a[28:29], v[92:93], v[116:119]// 000000006168: D3CD0074 0DD2B91C
	v_mfma_f32_16x16x16_f16 v[116:119], a[30:31], v[94:95], v[116:119]// 000000006170: D3CD0074 0DD2BD1E
	v_mfma_f32_16x16x16_f16 v[120:123], a[32:33], v[80:81], 0  // 000000006178: D3CD0078 0A02A120
	v_mfma_f32_16x16x16_f16 v[120:123], a[34:35], v[82:83], v[120:123]// 000000006180: D3CD0078 0DE2A522
	buffer_load_dwordx4 a[80:83], v28, s[16:19], 0 offen       // 000000006188: E05C1000 8084501C
	v_mfma_f32_16x16x16_f16 v[120:123], a[36:37], v[84:85], v[120:123]// 000000006190: D3CD0078 0DE2A924
	v_mfma_f32_16x16x16_f16 v[120:123], a[38:39], v[86:87], v[120:123]// 000000006198: D3CD0078 0DE2AD26
	v_mfma_f32_16x16x16_f16 v[120:123], a[40:41], v[88:89], v[120:123]// 0000000061A0: D3CD0078 0DE2B128
	v_mfma_f32_16x16x16_f16 v[120:123], a[42:43], v[90:91], v[120:123]// 0000000061A8: D3CD0078 0DE2B52A
	buffer_load_dwordx4 a[84:87], v28, s[16:19], 0 offen offset:1024// 0000000061B0: E05C1400 8084541C
	v_mfma_f32_16x16x16_f16 v[120:123], a[44:45], v[92:93], v[120:123]// 0000000061B8: D3CD0078 0DE2B92C
	v_mfma_f32_16x16x16_f16 v[120:123], a[46:47], v[94:95], v[120:123]// 0000000061C0: D3CD0078 0DE2BD2E
	v_mfma_f32_16x16x16_f16 v[124:127], a[48:49], v[80:81], 0  // 0000000061C8: D3CD007C 0A02A130
	v_mfma_f32_16x16x16_f16 v[124:127], a[50:51], v[82:83], v[124:127]// 0000000061D0: D3CD007C 0DF2A532
	buffer_load_dwordx4 a[88:91], v28, s[16:19], 0 offen offset:2048// 0000000061D8: E05C1800 8084581C
	v_mfma_f32_16x16x16_f16 v[124:127], a[52:53], v[84:85], v[124:127]// 0000000061E0: D3CD007C 0DF2A934
	v_mfma_f32_16x16x16_f16 v[124:127], a[54:55], v[86:87], v[124:127]// 0000000061E8: D3CD007C 0DF2AD36
	v_mfma_f32_16x16x16_f16 v[124:127], a[56:57], v[88:89], v[124:127]// 0000000061F0: D3CD007C 0DF2B138
	v_mfma_f32_16x16x16_f16 v[124:127], a[58:59], v[90:91], v[124:127]// 0000000061F8: D3CD007C 0DF2B53A
	buffer_load_dwordx4 a[92:95], v28, s[16:19], 0 offen offset:3072// 000000006200: E05C1C00 80845C1C
	v_mfma_f32_16x16x16_f16 v[124:127], a[60:61], v[92:93], v[124:127]// 000000006208: D3CD007C 0DF2B93C
	v_mfma_f32_16x16x16_f16 v[124:127], a[62:63], v[94:95], v[124:127]// 000000006210: D3CD007C 0DF2BD3E
	buffer_load_dwordx4 a[96:99], v29, s[16:19], 0 offen       // 000000006218: E05C1000 8084601D
	s_nop 8                                                    // 000000006220: BF800008
	buffer_load_dwordx4 a[100:103], v29, s[16:19], 0 offen offset:1024// 000000006224: E05C1400 8084641D
	v_mov_b32_e32 v50, v112                                    // 00000000622C: 7E640370
	v_max3_f32 v50, v112, v113, v50                            // 000000006230: D1D30032 04CAE370
	v_max3_f32 v50, v114, v115, v50                            // 000000006238: D1D30032 04CAE772
	v_max3_f32 v50, v116, v117, v50                            // 000000006240: D1D30032 04CAEB74
	v_max3_f32 v50, v118, v119, v50                            // 000000006248: D1D30032 04CAEF76
	v_max3_f32 v50, v120, v121, v50                            // 000000006250: D1D30032 04CAF378
	v_max3_f32 v50, v122, v123, v50                            // 000000006258: D1D30032 04CAF77A
	v_max3_f32 v50, v124, v125, v50                            // 000000006260: D1D30032 04CAFB7C
	v_max3_f32 v50, v126, v127, v50                            // 000000006268: D1D30032 04CAFF7E
	ds_write_b32 v11, v50                                      // 000000006270: D81A0000 0000320B
	buffer_load_dwordx4 a[104:107], v29, s[16:19], 0 offen offset:2048// 000000006278: E05C1800 8084681D
	s_waitcnt lgkmcnt(0)                                       // 000000006280: BF8CC07F
	s_barrier                                                  // 000000006284: BF8A0000
	ds_read_b32 v64, v10                                       // 000000006288: D86C0000 4000000A
	buffer_load_dwordx4 a[108:111], v29, s[16:19], 0 offen offset:3072// 000000006290: E05C1C00 80846C1D
	ds_read_b32 v65, v10 offset:64                             // 000000006298: D86C0040 4100000A
	ds_read_b32 v66, v10 offset:128                            // 0000000062A0: D86C0080 4200000A
	ds_read_b32 v67, v10 offset:192                            // 0000000062A8: D86C00C0 4300000A
	ds_read_b32 v68, v10 offset:256                            // 0000000062B0: D86C0100 4400000A
	ds_read_b32 v69, v10 offset:320                            // 0000000062B8: D86C0140 4500000A
	ds_read_b32 v70, v10 offset:384                            // 0000000062C0: D86C0180 4600000A
	ds_read_b32 v71, v10 offset:448                            // 0000000062C8: D86C01C0 4700000A
	ds_read_b32 v72, v10 offset:512                            // 0000000062D0: D86C0200 4800000A
	buffer_load_dwordx4 a[112:115], v30, s[16:19], 0 offen     // 0000000062D8: E05C1000 8084701E
	ds_read_b32 v73, v10 offset:576                            // 0000000062E0: D86C0240 4900000A
	ds_read_b32 v74, v10 offset:640                            // 0000000062E8: D86C0280 4A00000A
	ds_read_b32 v75, v10 offset:704                            // 0000000062F0: D86C02C0 4B00000A
	ds_read_b32 v76, v10 offset:768                            // 0000000062F8: D86C0300 4C00000A
	ds_read_b32 v77, v10 offset:832                            // 000000006300: D86C0340 4D00000A
	ds_read_b32 v78, v10 offset:896                            // 000000006308: D86C0380 4E00000A
	ds_read_b32 v79, v10 offset:960                            // 000000006310: D86C03C0 4F00000A
	buffer_load_dwordx4 a[116:119], v30, s[16:19], 0 offen offset:1024// 000000006318: E05C1400 8084741E
	buffer_load_dwordx4 a[120:123], v30, s[16:19], 0 offen offset:2048// 000000006320: E05C1800 8084781E
	s_waitcnt lgkmcnt(0)                                       // 000000006328: BF8CC07F
	v_max3_f32 v50, v64, v65, v50                              // 00000000632C: D1D30032 04CA8340
	v_max3_f32 v50, v66, v67, v50                              // 000000006334: D1D30032 04CA8742
	v_max3_f32 v50, v68, v69, v50                              // 00000000633C: D1D30032 04CA8B44
	v_max3_f32 v50, v70, v71, v50                              // 000000006344: D1D30032 04CA8F46
	v_max3_f32 v50, v72, v73, v50                              // 00000000634C: D1D30032 04CA9348
	v_max3_f32 v50, v74, v75, v50                              // 000000006354: D1D30032 04CA974A
	v_max3_f32 v50, v76, v77, v50                              // 00000000635C: D1D30032 04CA9B4C
	v_max3_f32 v50, v78, v79, v50                              // 000000006364: D1D30032 04CA9F4E
	buffer_load_dwordx4 a[124:127], v30, s[16:19], 0 offen offset:3072// 00000000636C: E05C1C00 80847C1E
	v_cmp_eq_u32_e64 s[40:41], v55, v14                        // 000000006374: D0CA0028 00021D37
	s_nop 1                                                    // 00000000637C: BF800001
	v_max_f32_e32 v16, v50, v14                                // 000000006380: 16201D32
	v_sub_f32_e32 v51, v14, v16                                // 000000006384: 0466210E
	v_cndmask_b32_e64 v51, v51, 0, s[40:41]                    // 000000006388: D1000033 00A10133
	v_mov_b32_e32 v14, v16                                     // 000000006390: 7E1C0310
	v_mul_f32_e32 v53, s64, v16                                // 000000006394: 0A6A2040
	v_mul_f32_e32 v51, s64, v51                                // 000000006398: 0A666640
	v_exp_f32_e32 v51, v51                                     // 00000000639C: 7E664133
	buffer_load_dwordx4 a[192:195], v200, s[20:23], 0 offen    // 0000000063A0: E05C1000 8085C0C8
	v_fma_f32 v112, v112, s64, -v53                            // 0000000063A8: D1CB0070 84D48170
	v_fma_f32 v113, v113, s64, -v53                            // 0000000063B0: D1CB0071 84D48171
	v_fma_f32 v114, v114, s64, -v53                            // 0000000063B8: D1CB0072 84D48172
	v_fma_f32 v115, v115, s64, -v53                            // 0000000063C0: D1CB0073 84D48173
	v_fma_f32 v116, v116, s64, -v53                            // 0000000063C8: D1CB0074 84D48174
	v_fma_f32 v117, v117, s64, -v53                            // 0000000063D0: D1CB0075 84D48175
	v_fma_f32 v118, v118, s64, -v53                            // 0000000063D8: D1CB0076 84D48176
	v_fma_f32 v119, v119, s64, -v53                            // 0000000063E0: D1CB0077 84D48177
	v_fma_f32 v120, v120, s64, -v53                            // 0000000063E8: D1CB0078 84D48178
	v_fma_f32 v121, v121, s64, -v53                            // 0000000063F0: D1CB0079 84D48179
	v_fma_f32 v122, v122, s64, -v53                            // 0000000063F8: D1CB007A 84D4817A
	v_fma_f32 v123, v123, s64, -v53                            // 000000006400: D1CB007B 84D4817B
	v_fma_f32 v124, v124, s64, -v53                            // 000000006408: D1CB007C 84D4817C
	v_fma_f32 v125, v125, s64, -v53                            // 000000006410: D1CB007D 84D4817D
	v_fma_f32 v126, v126, s64, -v53                            // 000000006418: D1CB007E 84D4817E
	v_fma_f32 v127, v127, s64, -v53                            // 000000006420: D1CB007F 84D4817F
	v_exp_f32_e32 v112, v112                                   // 000000006428: 7EE04170
	v_exp_f32_e32 v113, v113                                   // 00000000642C: 7EE24171
	v_exp_f32_e32 v114, v114                                   // 000000006430: 7EE44172
	v_exp_f32_e32 v115, v115                                   // 000000006434: 7EE64173
	v_exp_f32_e32 v116, v116                                   // 000000006438: 7EE84174
	v_exp_f32_e32 v117, v117                                   // 00000000643C: 7EEA4175
	v_exp_f32_e32 v118, v118                                   // 000000006440: 7EEC4176
	v_exp_f32_e32 v119, v119                                   // 000000006444: 7EEE4177
	v_exp_f32_e32 v120, v120                                   // 000000006448: 7EF04178
	v_exp_f32_e32 v121, v121                                   // 00000000644C: 7EF24179
	v_exp_f32_e32 v122, v122                                   // 000000006450: 7EF4417A
	v_exp_f32_e32 v123, v123                                   // 000000006454: 7EF6417B
	v_exp_f32_e32 v124, v124                                   // 000000006458: 7EF8417C
	v_exp_f32_e32 v125, v125                                   // 00000000645C: 7EFA417D
	v_exp_f32_e32 v126, v126                                   // 000000006460: 7EFC417E
	v_exp_f32_e32 v127, v127                                   // 000000006464: 7EFE417F
	buffer_load_dwordx4 a[196:199], v201, s[20:23], 0 offen    // 000000006468: E05C1000 8085C4C9
	v_mul_f32_e32 v43, v51, v43                                // 000000006470: 0A565733
	v_mov_b32_e32 v45, v112                                    // 000000006474: 7E5A0370
	v_add_f32_e32 v45, v113, v45                               // 000000006478: 025A5B71
	v_add_f32_e32 v45, v114, v45                               // 00000000647C: 025A5B72
	v_add_f32_e32 v45, v115, v45                               // 000000006480: 025A5B73
	v_add_f32_e32 v45, v116, v45                               // 000000006484: 025A5B74
	v_add_f32_e32 v45, v117, v45                               // 000000006488: 025A5B75
	v_add_f32_e32 v45, v118, v45                               // 00000000648C: 025A5B76
	v_add_f32_e32 v45, v119, v45                               // 000000006490: 025A5B77
	v_add_f32_e32 v45, v120, v45                               // 000000006494: 025A5B78
	v_add_f32_e32 v45, v121, v45                               // 000000006498: 025A5B79
	v_add_f32_e32 v45, v122, v45                               // 00000000649C: 025A5B7A
	v_add_f32_e32 v45, v123, v45                               // 0000000064A0: 025A5B7B
	v_add_f32_e32 v45, v124, v45                               // 0000000064A4: 025A5B7C
	v_add_f32_e32 v45, v125, v45                               // 0000000064A8: 025A5B7D
	v_add_f32_e32 v45, v126, v45                               // 0000000064AC: 025A5B7E
	v_add_f32_e32 v45, v127, v45                               // 0000000064B0: 025A5B7F
	v_add_f32_e32 v43, v45, v43                                // 0000000064B4: 0256572D
	buffer_load_dwordx4 a[200:203], v202, s[20:23], 0 offen    // 0000000064B8: E05C1000 8085C8CA
	v_cvt_pkrtz_f16_f32 v39, v112, v113                        // 0000000064C0: D2960027 0002E370
	v_mov_b32_e32 v112, v39                                    // 0000000064C8: 7EE00327
	v_cvt_pkrtz_f16_f32 v39, v114, v115                        // 0000000064CC: D2960027 0002E772
	v_mov_b32_e32 v113, v39                                    // 0000000064D4: 7EE20327
	v_cvt_pkrtz_f16_f32 v39, v116, v117                        // 0000000064D8: D2960027 0002EB74
	v_mov_b32_e32 v114, v39                                    // 0000000064E0: 7EE40327
	v_cvt_pkrtz_f16_f32 v39, v118, v119                        // 0000000064E4: D2960027 0002EF76
	v_mov_b32_e32 v115, v39                                    // 0000000064EC: 7EE60327
	v_cvt_pkrtz_f16_f32 v39, v120, v121                        // 0000000064F0: D2960027 0002F378
	v_mov_b32_e32 v116, v39                                    // 0000000064F8: 7EE80327
	v_cvt_pkrtz_f16_f32 v39, v122, v123                        // 0000000064FC: D2960027 0002F77A
	v_mov_b32_e32 v117, v39                                    // 000000006504: 7EEA0327
	v_cvt_pkrtz_f16_f32 v39, v124, v125                        // 000000006508: D2960027 0002FB7C
	v_mov_b32_e32 v118, v39                                    // 000000006510: 7EEC0327
	v_cvt_pkrtz_f16_f32 v39, v126, v127                        // 000000006514: D2960027 0002FF7E
	v_mov_b32_e32 v119, v39                                    // 00000000651C: 7EEE0327
	buffer_load_dwordx4 a[204:207], v203, s[20:23], 0 offen    // 000000006520: E05C1000 8085CCCB
	buffer_load_dwordx4 a[208:211], v204, s[20:23], 0 offen    // 000000006528: E05C1000 8085D0CC
	ds_write_b64 v13, v[112:113] offset:4096                   // 000000006530: D89A1000 0000700D
	ds_write_b64 v13, v[114:115] offset:6144                   // 000000006538: D89A1800 0000720D
	ds_write_b64 v13, v[116:117] offset:8192                   // 000000006540: D89A2000 0000740D
	ds_write_b64 v13, v[118:119] offset:10240                  // 000000006548: D89A2800 0000760D
	buffer_load_dwordx4 a[212:215], v205, s[20:23], 0 offen    // 000000006550: E05C1000 8085D4CD
	s_waitcnt lgkmcnt(0)                                       // 000000006558: BF8CC07F
	s_barrier                                                  // 00000000655C: BF8A0000
	ds_read_b64 v[112:113], v12 offset:4096                    // 000000006560: D8EC1000 7000000C
	ds_read_b64 v[114:115], v12 offset:4224                    // 000000006568: D8EC1080 7200000C
	ds_read_b64 v[116:117], v12 offset:5120                    // 000000006570: D8EC1400 7400000C
	ds_read_b64 v[118:119], v12 offset:5248                    // 000000006578: D8EC1480 7600000C
	ds_read_b64 v[120:121], v12 offset:6144                    // 000000006580: D8EC1800 7800000C
	ds_read_b64 v[122:123], v12 offset:6272                    // 000000006588: D8EC1880 7A00000C
	ds_read_b64 v[124:125], v12 offset:7168                    // 000000006590: D8EC1C00 7C00000C
	ds_read_b64 v[126:127], v12 offset:7296                    // 000000006598: D8EC1C80 7E00000C
	ds_read_b64 v[128:129], v12 offset:8192                    // 0000000065A0: D8EC2000 8000000C
	ds_read_b64 v[130:131], v12 offset:8320                    // 0000000065A8: D8EC2080 8200000C
	ds_read_b64 v[132:133], v12 offset:9216                    // 0000000065B0: D8EC2400 8400000C
	ds_read_b64 v[134:135], v12 offset:9344                    // 0000000065B8: D8EC2480 8600000C
	ds_read_b64 v[136:137], v12 offset:10240                   // 0000000065C0: D8EC2800 8800000C
	ds_read_b64 v[138:139], v12 offset:10368                   // 0000000065C8: D8EC2880 8A00000C
	ds_read_b64 v[140:141], v12 offset:11264                   // 0000000065D0: D8EC2C00 8C00000C
	ds_read_b64 v[142:143], v12 offset:11392                   // 0000000065D8: D8EC2C80 8E00000C
	buffer_load_dwordx4 a[216:219], v206, s[20:23], 0 offen    // 0000000065E0: E05C1000 8085D8CE
	buffer_load_dwordx4 a[220:223], v207, s[20:23], 0 offen    // 0000000065E8: E05C1000 8085DCCF
	s_waitcnt lgkmcnt(0)                                       // 0000000065F0: BF8CC07F
	v_mul_f32_e32 v176, v51, v176                              // 0000000065F4: 0B616133
	v_mul_f32_e32 v177, v51, v177                              // 0000000065F8: 0B636333
	v_mul_f32_e32 v178, v51, v178                              // 0000000065FC: 0B656533
	v_mul_f32_e32 v179, v51, v179                              // 000000006600: 0B676733
	v_mul_f32_e32 v180, v51, v180                              // 000000006604: 0B696933
	v_mul_f32_e32 v181, v51, v181                              // 000000006608: 0B6B6B33
	v_mul_f32_e32 v182, v51, v182                              // 00000000660C: 0B6D6D33
	v_mul_f32_e32 v183, v51, v183                              // 000000006610: 0B6F6F33
	s_waitcnt vmcnt(24)                                        // 000000006614: BF8C4F78
	v_mfma_f32_16x16x16_f16 v[176:179], a[128:129], v[112:113], v[176:179]// 000000006618: D3CD00B0 0EC2E180
	v_mfma_f32_16x16x16_f16 v[176:179], a[130:131], v[114:115], v[176:179]// 000000006620: D3CD00B0 0EC2E582
	buffer_load_dwordx4 a[224:227], v200, s[20:23], 0 offen offset:1024// 000000006628: E05C1400 8085E0C8
	v_mfma_f32_16x16x16_f16 v[176:179], a[132:133], v[116:117], v[176:179]// 000000006630: D3CD00B0 0EC2E984
	v_mfma_f32_16x16x16_f16 v[176:179], a[134:135], v[118:119], v[176:179]// 000000006638: D3CD00B0 0EC2ED86
	v_mfma_f32_16x16x16_f16 v[176:179], a[136:137], v[120:121], v[176:179]// 000000006640: D3CD00B0 0EC2F188
	v_mfma_f32_16x16x16_f16 v[176:179], a[138:139], v[122:123], v[176:179]// 000000006648: D3CD00B0 0EC2F58A
	buffer_load_dwordx4 a[228:231], v201, s[20:23], 0 offen offset:1024// 000000006650: E05C1400 8085E4C9
	v_mfma_f32_16x16x16_f16 v[176:179], a[140:141], v[124:125], v[176:179]// 000000006658: D3CD00B0 0EC2F98C
	v_mfma_f32_16x16x16_f16 v[176:179], a[142:143], v[126:127], v[176:179]// 000000006660: D3CD00B0 0EC2FD8E
	v_mfma_f32_16x16x16_f16 v[176:179], a[144:145], v[128:129], v[176:179]// 000000006668: D3CD00B0 0EC30190
	v_mfma_f32_16x16x16_f16 v[176:179], a[146:147], v[130:131], v[176:179]// 000000006670: D3CD00B0 0EC30592
	buffer_load_dwordx4 a[232:235], v202, s[20:23], 0 offen offset:1024// 000000006678: E05C1400 8085E8CA
	v_mfma_f32_16x16x16_f16 v[176:179], a[148:149], v[132:133], v[176:179]// 000000006680: D3CD00B0 0EC30994
	v_mfma_f32_16x16x16_f16 v[176:179], a[150:151], v[134:135], v[176:179]// 000000006688: D3CD00B0 0EC30D96
	v_mfma_f32_16x16x16_f16 v[176:179], a[152:153], v[136:137], v[176:179]// 000000006690: D3CD00B0 0EC31198
	v_mfma_f32_16x16x16_f16 v[176:179], a[154:155], v[138:139], v[176:179]// 000000006698: D3CD00B0 0EC3159A
	buffer_load_dwordx4 a[236:239], v203, s[20:23], 0 offen offset:1024// 0000000066A0: E05C1400 8085ECCB
	v_mfma_f32_16x16x16_f16 v[176:179], a[156:157], v[140:141], v[176:179]// 0000000066A8: D3CD00B0 0EC3199C
	v_mfma_f32_16x16x16_f16 v[176:179], a[158:159], v[142:143], v[176:179]// 0000000066B0: D3CD00B0 0EC31D9E
	v_mfma_f32_16x16x16_f16 v[180:183], a[160:161], v[112:113], v[180:183]// 0000000066B8: D3CD00B4 0ED2E1A0
	v_mfma_f32_16x16x16_f16 v[180:183], a[162:163], v[114:115], v[180:183]// 0000000066C0: D3CD00B4 0ED2E5A2
	buffer_load_dwordx4 a[240:243], v204, s[20:23], 0 offen offset:1024// 0000000066C8: E05C1400 8085F0CC
	v_mfma_f32_16x16x16_f16 v[180:183], a[164:165], v[116:117], v[180:183]// 0000000066D0: D3CD00B4 0ED2E9A4
	v_mfma_f32_16x16x16_f16 v[180:183], a[166:167], v[118:119], v[180:183]// 0000000066D8: D3CD00B4 0ED2EDA6
	v_mfma_f32_16x16x16_f16 v[180:183], a[168:169], v[120:121], v[180:183]// 0000000066E0: D3CD00B4 0ED2F1A8
	v_mfma_f32_16x16x16_f16 v[180:183], a[170:171], v[122:123], v[180:183]// 0000000066E8: D3CD00B4 0ED2F5AA
	buffer_load_dwordx4 a[244:247], v205, s[20:23], 0 offen offset:1024// 0000000066F0: E05C1400 8085F4CD
	v_mfma_f32_16x16x16_f16 v[180:183], a[172:173], v[124:125], v[180:183]// 0000000066F8: D3CD00B4 0ED2F9AC
	v_mfma_f32_16x16x16_f16 v[180:183], a[174:175], v[126:127], v[180:183]// 000000006700: D3CD00B4 0ED2FDAE
	v_mfma_f32_16x16x16_f16 v[180:183], a[176:177], v[128:129], v[180:183]// 000000006708: D3CD00B4 0ED301B0
	v_mfma_f32_16x16x16_f16 v[180:183], a[178:179], v[130:131], v[180:183]// 000000006710: D3CD00B4 0ED305B2
	buffer_load_dwordx4 a[248:251], v206, s[20:23], 0 offen offset:1024// 000000006718: E05C1400 8085F8CE
	v_mfma_f32_16x16x16_f16 v[180:183], a[180:181], v[132:133], v[180:183]// 000000006720: D3CD00B4 0ED309B4
	v_mfma_f32_16x16x16_f16 v[180:183], a[182:183], v[134:135], v[180:183]// 000000006728: D3CD00B4 0ED30DB6
	v_mfma_f32_16x16x16_f16 v[180:183], a[184:185], v[136:137], v[180:183]// 000000006730: D3CD00B4 0ED311B8
	v_mfma_f32_16x16x16_f16 v[180:183], a[186:187], v[138:139], v[180:183]// 000000006738: D3CD00B4 0ED315BA
	buffer_load_dwordx4 a[252:255], v207, s[20:23], 0 offen offset:1024// 000000006740: E05C1400 8085FCCF
	v_mfma_f32_16x16x16_f16 v[180:183], a[188:189], v[140:141], v[180:183]// 000000006748: D3CD00B4 0ED319BC
	v_mfma_f32_16x16x16_f16 v[180:183], a[190:191], v[142:143], v[180:183]// 000000006750: D3CD00B4 0ED31DBE
	s_lshr_b32 s60, s70, 4                                     // 000000006758: 8F3C8446
	s_add_u32 s60, 48, s60                                     // 00000000675C: 803C3CB0
	s_cmp_ge_u32 s60, s73                                      // 000000006760: BF09493C
	s_cselect_b32 s56, 0, s56                                  // 000000006764: 85383880
	v_mul_u32_u24_dpp v39, v17, v54 row_newbcast:0 row_mask:0xf bank_mask:0xf// 000000006768: 104E6CFA FF015011
	v_mul_u32_u24_dpp v40, v17, v54 row_newbcast:4 row_mask:0xf bank_mask:0xf// 000000006770: 10506CFA FF015411
	v_mul_u32_u24_dpp v41, v17, v54 row_newbcast:8 row_mask:0xf bank_mask:0xf// 000000006778: 10526CFA FF015811
	v_mul_u32_u24_dpp v42, v17, v54 row_newbcast:12 row_mask:0xf bank_mask:0xf// 000000006780: 10546CFA FF015C11
	v_add_u32_e32 v23, v39, v6                                 // 000000006788: 682E0D27
	v_add_u32_e32 v24, v40, v6                                 // 00000000678C: 68300D28
	v_add_u32_e32 v25, v41, v6                                 // 000000006790: 68320D29
	v_add_u32_e32 v26, v42, v6                                 // 000000006794: 68340D2A
	v_mul_u32_u24_dpp v39, v17, v54 row_newbcast:1 row_mask:0xf bank_mask:0xf// 000000006798: 104E6CFA FF015111
	v_mul_u32_u24_dpp v40, v17, v54 row_newbcast:2 row_mask:0xf bank_mask:0xf// 0000000067A0: 10506CFA FF015211
	v_mul_u32_u24_dpp v41, v17, v54 row_newbcast:5 row_mask:0xf bank_mask:0xf// 0000000067A8: 10526CFA FF015511
	v_mul_u32_u24_dpp v42, v17, v54 row_newbcast:6 row_mask:0xf bank_mask:0xf// 0000000067B0: 10546CFA FF015611
	v_add_u32_e32 v192, v39, v7                                // 0000000067B8: 69800F27
	v_add_u32_e32 v193, v40, v7                                // 0000000067BC: 69820F28
	v_add_u32_e32 v194, v41, v7                                // 0000000067C0: 69840F29
	v_add_u32_e32 v195, v42, v7                                // 0000000067C4: 69860F2A
	v_mul_u32_u24_dpp v39, v17, v54 row_newbcast:9 row_mask:0xf bank_mask:0xf// 0000000067C8: 104E6CFA FF015911
	v_mul_u32_u24_dpp v40, v17, v54 row_newbcast:10 row_mask:0xf bank_mask:0xf// 0000000067D0: 10506CFA FF015A11
	v_mul_u32_u24_dpp v41, v17, v54 row_newbcast:13 row_mask:0xf bank_mask:0xf// 0000000067D8: 10526CFA FF015D11
	v_mul_u32_u24_dpp v42, v17, v54 row_newbcast:7 row_mask:0xf bank_mask:0xf// 0000000067E0: 10546CFA FF015711
	v_add_u32_e32 v196, v39, v7                                // 0000000067E8: 69880F27
	v_add_u32_e32 v197, v40, v7                                // 0000000067EC: 698A0F28
	v_add_u32_e32 v198, v41, v7                                // 0000000067F0: 698C0F29
	v_add_u32_e32 v199, v42, v7                                // 0000000067F4: 698E0F2A
	v_add_u32_e32 v1, s56, v1                                  // 0000000067F8: 68020238
	s_addk_i32 s70, 0x100                                      // 0000000067FC: B7460100
	s_cmp_lt_i32 s70, s71                                      // 000000006800: BF044746
	s_cbranch_scc0 label_1353                                  // 000000006804: BF8401D0
	s_waitcnt vmcnt(16) lgkmcnt(0)                             // 000000006808: BF8C4070
	v_mfma_f32_16x16x16_f16 v[112:115], a[64:65], v[80:81], 0  // 00000000680C: D3CD0070 0A02A140
	v_mfma_f32_16x16x16_f16 v[112:115], a[66:67], v[82:83], v[112:115]// 000000006814: D3CD0070 0DC2A542
	buffer_load_dwordx4 a[0:3], v23, s[16:19], 0 offen         // 00000000681C: E05C1000 80840017
	v_mfma_f32_16x16x16_f16 v[112:115], a[68:69], v[84:85], v[112:115]// 000000006824: D3CD0070 0DC2A944
	v_mfma_f32_16x16x16_f16 v[112:115], a[70:71], v[86:87], v[112:115]// 00000000682C: D3CD0070 0DC2AD46
	buffer_load_dword v18, v1, s[24:27], 0 offen               // 000000006834: E0501000 80061201
	v_mfma_f32_16x16x16_f16 v[112:115], a[72:73], v[88:89], v[112:115]// 00000000683C: D3CD0070 0DC2B148
	v_mfma_f32_16x16x16_f16 v[112:115], a[74:75], v[90:91], v[112:115]// 000000006844: D3CD0070 0DC2B54A
	buffer_load_dwordx4 a[4:7], v23, s[16:19], 0 offen offset:1024// 00000000684C: E05C1400 80840417
	v_mfma_f32_16x16x16_f16 v[112:115], a[76:77], v[92:93], v[112:115]// 000000006854: D3CD0070 0DC2B94C
	v_mfma_f32_16x16x16_f16 v[112:115], a[78:79], v[94:95], v[112:115]// 00000000685C: D3CD0070 0DC2BD4E
	v_mfma_f32_16x16x16_f16 v[116:119], a[80:81], v[80:81], 0  // 000000006864: D3CD0074 0A02A150
	v_mfma_f32_16x16x16_f16 v[116:119], a[82:83], v[82:83], v[116:119]// 00000000686C: D3CD0074 0DD2A552
	buffer_load_dwordx4 a[8:11], v23, s[16:19], 0 offen offset:2048// 000000006874: E05C1800 80840817
	v_mfma_f32_16x16x16_f16 v[116:119], a[84:85], v[84:85], v[116:119]// 00000000687C: D3CD0074 0DD2A954
	v_mfma_f32_16x16x16_f16 v[116:119], a[86:87], v[86:87], v[116:119]// 000000006884: D3CD0074 0DD2AD56
	v_mfma_f32_16x16x16_f16 v[116:119], a[88:89], v[88:89], v[116:119]// 00000000688C: D3CD0074 0DD2B158
	v_mfma_f32_16x16x16_f16 v[116:119], a[90:91], v[90:91], v[116:119]// 000000006894: D3CD0074 0DD2B55A
	buffer_load_dwordx4 a[12:15], v23, s[16:19], 0 offen offset:3072// 00000000689C: E05C1C00 80840C17
	v_mfma_f32_16x16x16_f16 v[116:119], a[92:93], v[92:93], v[116:119]// 0000000068A4: D3CD0074 0DD2B95C
	v_mfma_f32_16x16x16_f16 v[116:119], a[94:95], v[94:95], v[116:119]// 0000000068AC: D3CD0074 0DD2BD5E
	v_mfma_f32_16x16x16_f16 v[120:123], a[96:97], v[80:81], 0  // 0000000068B4: D3CD0078 0A02A160
	v_mfma_f32_16x16x16_f16 v[120:123], a[98:99], v[82:83], v[120:123]// 0000000068BC: D3CD0078 0DE2A562
	buffer_load_dwordx4 a[16:19], v24, s[16:19], 0 offen       // 0000000068C4: E05C1000 80841018
	v_mfma_f32_16x16x16_f16 v[120:123], a[100:101], v[84:85], v[120:123]// 0000000068CC: D3CD0078 0DE2A964
	v_mfma_f32_16x16x16_f16 v[120:123], a[102:103], v[86:87], v[120:123]// 0000000068D4: D3CD0078 0DE2AD66
	v_mfma_f32_16x16x16_f16 v[120:123], a[104:105], v[88:89], v[120:123]// 0000000068DC: D3CD0078 0DE2B168
	v_mfma_f32_16x16x16_f16 v[120:123], a[106:107], v[90:91], v[120:123]// 0000000068E4: D3CD0078 0DE2B56A
	buffer_load_dwordx4 a[20:23], v24, s[16:19], 0 offen offset:1024// 0000000068EC: E05C1400 80841418
	v_mfma_f32_16x16x16_f16 v[120:123], a[108:109], v[92:93], v[120:123]// 0000000068F4: D3CD0078 0DE2B96C
	v_mfma_f32_16x16x16_f16 v[120:123], a[110:111], v[94:95], v[120:123]// 0000000068FC: D3CD0078 0DE2BD6E
	v_mfma_f32_16x16x16_f16 v[124:127], a[112:113], v[80:81], 0// 000000006904: D3CD007C 0A02A170
	v_mfma_f32_16x16x16_f16 v[124:127], a[114:115], v[82:83], v[124:127]// 00000000690C: D3CD007C 0DF2A572
	buffer_load_dwordx4 a[24:27], v24, s[16:19], 0 offen offset:2048// 000000006914: E05C1800 80841818
	v_mfma_f32_16x16x16_f16 v[124:127], a[116:117], v[84:85], v[124:127]// 00000000691C: D3CD007C 0DF2A974
	v_mfma_f32_16x16x16_f16 v[124:127], a[118:119], v[86:87], v[124:127]// 000000006924: D3CD007C 0DF2AD76
	v_mfma_f32_16x16x16_f16 v[124:127], a[120:121], v[88:89], v[124:127]// 00000000692C: D3CD007C 0DF2B178
	v_mfma_f32_16x16x16_f16 v[124:127], a[122:123], v[90:91], v[124:127]// 000000006934: D3CD007C 0DF2B57A
	buffer_load_dwordx4 a[28:31], v24, s[16:19], 0 offen offset:3072// 00000000693C: E05C1C00 80841C18
	v_mfma_f32_16x16x16_f16 v[124:127], a[124:125], v[92:93], v[124:127]// 000000006944: D3CD007C 0DF2B97C
	v_mfma_f32_16x16x16_f16 v[124:127], a[126:127], v[94:95], v[124:127]// 00000000694C: D3CD007C 0DF2BD7E
	buffer_load_dwordx4 a[32:35], v25, s[16:19], 0 offen       // 000000006954: E05C1000 80842019
	s_nop 8                                                    // 00000000695C: BF800008
	buffer_load_dwordx4 a[36:39], v25, s[16:19], 0 offen offset:1024// 000000006960: E05C1400 80842419
	v_mov_b32_e32 v50, v112                                    // 000000006968: 7E640370
	v_max3_f32 v50, v112, v113, v50                            // 00000000696C: D1D30032 04CAE370
	v_max3_f32 v50, v114, v115, v50                            // 000000006974: D1D30032 04CAE772
	v_max3_f32 v50, v116, v117, v50                            // 00000000697C: D1D30032 04CAEB74
	v_max3_f32 v50, v118, v119, v50                            // 000000006984: D1D30032 04CAEF76
	v_max3_f32 v50, v120, v121, v50                            // 00000000698C: D1D30032 04CAF378
	v_max3_f32 v50, v122, v123, v50                            // 000000006994: D1D30032 04CAF77A
	v_max3_f32 v50, v124, v125, v50                            // 00000000699C: D1D30032 04CAFB7C
	v_max3_f32 v50, v126, v127, v50                            // 0000000069A4: D1D30032 04CAFF7E
	ds_write_b32 v11, v50                                      // 0000000069AC: D81A0000 0000320B
	buffer_load_dwordx4 a[40:43], v25, s[16:19], 0 offen offset:2048// 0000000069B4: E05C1800 80842819
	s_waitcnt lgkmcnt(0)                                       // 0000000069BC: BF8CC07F
	s_barrier                                                  // 0000000069C0: BF8A0000
	ds_read_b32 v64, v10                                       // 0000000069C4: D86C0000 4000000A
	buffer_load_dwordx4 a[44:47], v25, s[16:19], 0 offen offset:3072// 0000000069CC: E05C1C00 80842C19
	ds_read_b32 v65, v10 offset:64                             // 0000000069D4: D86C0040 4100000A
	ds_read_b32 v66, v10 offset:128                            // 0000000069DC: D86C0080 4200000A
	ds_read_b32 v67, v10 offset:192                            // 0000000069E4: D86C00C0 4300000A
	ds_read_b32 v68, v10 offset:256                            // 0000000069EC: D86C0100 4400000A
	ds_read_b32 v69, v10 offset:320                            // 0000000069F4: D86C0140 4500000A
	ds_read_b32 v70, v10 offset:384                            // 0000000069FC: D86C0180 4600000A
	ds_read_b32 v71, v10 offset:448                            // 000000006A04: D86C01C0 4700000A
	ds_read_b32 v72, v10 offset:512                            // 000000006A0C: D86C0200 4800000A
	buffer_load_dwordx4 a[48:51], v26, s[16:19], 0 offen       // 000000006A14: E05C1000 8084301A
	ds_read_b32 v73, v10 offset:576                            // 000000006A1C: D86C0240 4900000A
	ds_read_b32 v74, v10 offset:640                            // 000000006A24: D86C0280 4A00000A
	ds_read_b32 v75, v10 offset:704                            // 000000006A2C: D86C02C0 4B00000A
	ds_read_b32 v76, v10 offset:768                            // 000000006A34: D86C0300 4C00000A
	ds_read_b32 v77, v10 offset:832                            // 000000006A3C: D86C0340 4D00000A
	ds_read_b32 v78, v10 offset:896                            // 000000006A44: D86C0380 4E00000A
	ds_read_b32 v79, v10 offset:960                            // 000000006A4C: D86C03C0 4F00000A
	buffer_load_dwordx4 a[52:55], v26, s[16:19], 0 offen offset:1024// 000000006A54: E05C1400 8084341A
	buffer_load_dwordx4 a[56:59], v26, s[16:19], 0 offen offset:2048// 000000006A5C: E05C1800 8084381A
	s_waitcnt lgkmcnt(0)                                       // 000000006A64: BF8CC07F
	v_max3_f32 v50, v64, v65, v50                              // 000000006A68: D1D30032 04CA8340
	v_max3_f32 v50, v66, v67, v50                              // 000000006A70: D1D30032 04CA8742
	v_max3_f32 v50, v68, v69, v50                              // 000000006A78: D1D30032 04CA8B44
	v_max3_f32 v50, v70, v71, v50                              // 000000006A80: D1D30032 04CA8F46
	v_max3_f32 v50, v72, v73, v50                              // 000000006A88: D1D30032 04CA9348
	v_max3_f32 v50, v74, v75, v50                              // 000000006A90: D1D30032 04CA974A
	v_max3_f32 v50, v76, v77, v50                              // 000000006A98: D1D30032 04CA9B4C
	v_max3_f32 v50, v78, v79, v50                              // 000000006AA0: D1D30032 04CA9F4E
	buffer_load_dwordx4 a[60:63], v26, s[16:19], 0 offen offset:3072// 000000006AA8: E05C1C00 80843C1A
	v_cmp_eq_u32_e64 s[40:41], v55, v14                        // 000000006AB0: D0CA0028 00021D37
	s_nop 1                                                    // 000000006AB8: BF800001
	v_max_f32_e32 v16, v50, v14                                // 000000006ABC: 16201D32
	v_sub_f32_e32 v51, v14, v16                                // 000000006AC0: 0466210E
	v_cndmask_b32_e64 v51, v51, 0, s[40:41]                    // 000000006AC4: D1000033 00A10133
	v_mov_b32_e32 v14, v16                                     // 000000006ACC: 7E1C0310
	v_mul_f32_e32 v53, s64, v16                                // 000000006AD0: 0A6A2040
	v_mul_f32_e32 v51, s64, v51                                // 000000006AD4: 0A666640
	v_exp_f32_e32 v51, v51                                     // 000000006AD8: 7E664133
	buffer_load_dwordx4 a[128:131], v192, s[20:23], 0 offen    // 000000006ADC: E05C1000 808580C0
	v_fma_f32 v112, v112, s64, -v53                            // 000000006AE4: D1CB0070 84D48170
	v_fma_f32 v113, v113, s64, -v53                            // 000000006AEC: D1CB0071 84D48171
	v_fma_f32 v114, v114, s64, -v53                            // 000000006AF4: D1CB0072 84D48172
	v_fma_f32 v115, v115, s64, -v53                            // 000000006AFC: D1CB0073 84D48173
	v_fma_f32 v116, v116, s64, -v53                            // 000000006B04: D1CB0074 84D48174
	v_fma_f32 v117, v117, s64, -v53                            // 000000006B0C: D1CB0075 84D48175
	v_fma_f32 v118, v118, s64, -v53                            // 000000006B14: D1CB0076 84D48176
	v_fma_f32 v119, v119, s64, -v53                            // 000000006B1C: D1CB0077 84D48177
	v_fma_f32 v120, v120, s64, -v53                            // 000000006B24: D1CB0078 84D48178
	v_fma_f32 v121, v121, s64, -v53                            // 000000006B2C: D1CB0079 84D48179
	v_fma_f32 v122, v122, s64, -v53                            // 000000006B34: D1CB007A 84D4817A
	v_fma_f32 v123, v123, s64, -v53                            // 000000006B3C: D1CB007B 84D4817B
	v_fma_f32 v124, v124, s64, -v53                            // 000000006B44: D1CB007C 84D4817C
	v_fma_f32 v125, v125, s64, -v53                            // 000000006B4C: D1CB007D 84D4817D
	v_fma_f32 v126, v126, s64, -v53                            // 000000006B54: D1CB007E 84D4817E
	v_fma_f32 v127, v127, s64, -v53                            // 000000006B5C: D1CB007F 84D4817F
	v_exp_f32_e32 v112, v112                                   // 000000006B64: 7EE04170
	v_exp_f32_e32 v113, v113                                   // 000000006B68: 7EE24171
	v_exp_f32_e32 v114, v114                                   // 000000006B6C: 7EE44172
	v_exp_f32_e32 v115, v115                                   // 000000006B70: 7EE64173
	v_exp_f32_e32 v116, v116                                   // 000000006B74: 7EE84174
	v_exp_f32_e32 v117, v117                                   // 000000006B78: 7EEA4175
	v_exp_f32_e32 v118, v118                                   // 000000006B7C: 7EEC4176
	v_exp_f32_e32 v119, v119                                   // 000000006B80: 7EEE4177
	v_exp_f32_e32 v120, v120                                   // 000000006B84: 7EF04178
	v_exp_f32_e32 v121, v121                                   // 000000006B88: 7EF24179
	v_exp_f32_e32 v122, v122                                   // 000000006B8C: 7EF4417A
	v_exp_f32_e32 v123, v123                                   // 000000006B90: 7EF6417B
	v_exp_f32_e32 v124, v124                                   // 000000006B94: 7EF8417C
	v_exp_f32_e32 v125, v125                                   // 000000006B98: 7EFA417D
	v_exp_f32_e32 v126, v126                                   // 000000006B9C: 7EFC417E
	v_exp_f32_e32 v127, v127                                   // 000000006BA0: 7EFE417F
	buffer_load_dwordx4 a[132:135], v193, s[20:23], 0 offen    // 000000006BA4: E05C1000 808584C1
	v_mul_f32_e32 v43, v51, v43                                // 000000006BAC: 0A565733
	v_mov_b32_e32 v45, v112                                    // 000000006BB0: 7E5A0370
	v_add_f32_e32 v45, v113, v45                               // 000000006BB4: 025A5B71
	v_add_f32_e32 v45, v114, v45                               // 000000006BB8: 025A5B72
	v_add_f32_e32 v45, v115, v45                               // 000000006BBC: 025A5B73
	v_add_f32_e32 v45, v116, v45                               // 000000006BC0: 025A5B74
	v_add_f32_e32 v45, v117, v45                               // 000000006BC4: 025A5B75
	v_add_f32_e32 v45, v118, v45                               // 000000006BC8: 025A5B76
	v_add_f32_e32 v45, v119, v45                               // 000000006BCC: 025A5B77
	v_add_f32_e32 v45, v120, v45                               // 000000006BD0: 025A5B78
	v_add_f32_e32 v45, v121, v45                               // 000000006BD4: 025A5B79
	v_add_f32_e32 v45, v122, v45                               // 000000006BD8: 025A5B7A
	v_add_f32_e32 v45, v123, v45                               // 000000006BDC: 025A5B7B
	v_add_f32_e32 v45, v124, v45                               // 000000006BE0: 025A5B7C
	v_add_f32_e32 v45, v125, v45                               // 000000006BE4: 025A5B7D
	v_add_f32_e32 v45, v126, v45                               // 000000006BE8: 025A5B7E
	v_add_f32_e32 v45, v127, v45                               // 000000006BEC: 025A5B7F
	v_add_f32_e32 v43, v45, v43                                // 000000006BF0: 0256572D
	buffer_load_dwordx4 a[136:139], v194, s[20:23], 0 offen    // 000000006BF4: E05C1000 808588C2
	v_cvt_pkrtz_f16_f32 v39, v112, v113                        // 000000006BFC: D2960027 0002E370
	v_mov_b32_e32 v112, v39                                    // 000000006C04: 7EE00327
	v_cvt_pkrtz_f16_f32 v39, v114, v115                        // 000000006C08: D2960027 0002E772
	v_mov_b32_e32 v113, v39                                    // 000000006C10: 7EE20327
	v_cvt_pkrtz_f16_f32 v39, v116, v117                        // 000000006C14: D2960027 0002EB74
	v_mov_b32_e32 v114, v39                                    // 000000006C1C: 7EE40327
	v_cvt_pkrtz_f16_f32 v39, v118, v119                        // 000000006C20: D2960027 0002EF76
	v_mov_b32_e32 v115, v39                                    // 000000006C28: 7EE60327
	v_cvt_pkrtz_f16_f32 v39, v120, v121                        // 000000006C2C: D2960027 0002F378
	v_mov_b32_e32 v116, v39                                    // 000000006C34: 7EE80327
	v_cvt_pkrtz_f16_f32 v39, v122, v123                        // 000000006C38: D2960027 0002F77A
	v_mov_b32_e32 v117, v39                                    // 000000006C40: 7EEA0327
	v_cvt_pkrtz_f16_f32 v39, v124, v125                        // 000000006C44: D2960027 0002FB7C
	v_mov_b32_e32 v118, v39                                    // 000000006C4C: 7EEC0327
	v_cvt_pkrtz_f16_f32 v39, v126, v127                        // 000000006C50: D2960027 0002FF7E
	v_mov_b32_e32 v119, v39                                    // 000000006C58: 7EEE0327
	buffer_load_dwordx4 a[140:143], v195, s[20:23], 0 offen    // 000000006C5C: E05C1000 80858CC3
	buffer_load_dwordx4 a[144:147], v196, s[20:23], 0 offen    // 000000006C64: E05C1000 808590C4
	ds_write_b64 v13, v[112:113] offset:4096                   // 000000006C6C: D89A1000 0000700D
	ds_write_b64 v13, v[114:115] offset:6144                   // 000000006C74: D89A1800 0000720D
	ds_write_b64 v13, v[116:117] offset:8192                   // 000000006C7C: D89A2000 0000740D
	ds_write_b64 v13, v[118:119] offset:10240                  // 000000006C84: D89A2800 0000760D
	buffer_load_dwordx4 a[148:151], v197, s[20:23], 0 offen    // 000000006C8C: E05C1000 808594C5
	s_waitcnt lgkmcnt(0)                                       // 000000006C94: BF8CC07F
	s_barrier                                                  // 000000006C98: BF8A0000
	ds_read_b64 v[112:113], v12 offset:4096                    // 000000006C9C: D8EC1000 7000000C
	ds_read_b64 v[114:115], v12 offset:4224                    // 000000006CA4: D8EC1080 7200000C
	ds_read_b64 v[116:117], v12 offset:5120                    // 000000006CAC: D8EC1400 7400000C
	ds_read_b64 v[118:119], v12 offset:5248                    // 000000006CB4: D8EC1480 7600000C
	ds_read_b64 v[120:121], v12 offset:6144                    // 000000006CBC: D8EC1800 7800000C
	ds_read_b64 v[122:123], v12 offset:6272                    // 000000006CC4: D8EC1880 7A00000C
	ds_read_b64 v[124:125], v12 offset:7168                    // 000000006CCC: D8EC1C00 7C00000C
	ds_read_b64 v[126:127], v12 offset:7296                    // 000000006CD4: D8EC1C80 7E00000C
	ds_read_b64 v[128:129], v12 offset:8192                    // 000000006CDC: D8EC2000 8000000C
	ds_read_b64 v[130:131], v12 offset:8320                    // 000000006CE4: D8EC2080 8200000C
	ds_read_b64 v[132:133], v12 offset:9216                    // 000000006CEC: D8EC2400 8400000C
	ds_read_b64 v[134:135], v12 offset:9344                    // 000000006CF4: D8EC2480 8600000C
	ds_read_b64 v[136:137], v12 offset:10240                   // 000000006CFC: D8EC2800 8800000C
	ds_read_b64 v[138:139], v12 offset:10368                   // 000000006D04: D8EC2880 8A00000C
	ds_read_b64 v[140:141], v12 offset:11264                   // 000000006D0C: D8EC2C00 8C00000C
	ds_read_b64 v[142:143], v12 offset:11392                   // 000000006D14: D8EC2C80 8E00000C
	buffer_load_dwordx4 a[152:155], v198, s[20:23], 0 offen    // 000000006D1C: E05C1000 808598C6
	buffer_load_dwordx4 a[156:159], v199, s[20:23], 0 offen    // 000000006D24: E05C1000 80859CC7
	s_waitcnt lgkmcnt(0)                                       // 000000006D2C: BF8CC07F
	v_mul_f32_e32 v176, v51, v176                              // 000000006D30: 0B616133
	v_mul_f32_e32 v177, v51, v177                              // 000000006D34: 0B636333
	v_mul_f32_e32 v178, v51, v178                              // 000000006D38: 0B656533
	v_mul_f32_e32 v179, v51, v179                              // 000000006D3C: 0B676733
	v_mul_f32_e32 v180, v51, v180                              // 000000006D40: 0B696933
	v_mul_f32_e32 v181, v51, v181                              // 000000006D44: 0B6B6B33
	v_mul_f32_e32 v182, v51, v182                              // 000000006D48: 0B6D6D33
	v_mul_f32_e32 v183, v51, v183                              // 000000006D4C: 0B6F6F33
	s_waitcnt vmcnt(24)                                        // 000000006D50: BF8C4F78
	v_mfma_f32_16x16x16_f16 v[176:179], a[192:193], v[112:113], v[176:179]// 000000006D54: D3CD00B0 0EC2E1C0
	v_mfma_f32_16x16x16_f16 v[176:179], a[194:195], v[114:115], v[176:179]// 000000006D5C: D3CD00B0 0EC2E5C2
	buffer_load_dwordx4 a[160:163], v192, s[20:23], 0 offen offset:1024// 000000006D64: E05C1400 8085A0C0
	v_mfma_f32_16x16x16_f16 v[176:179], a[196:197], v[116:117], v[176:179]// 000000006D6C: D3CD00B0 0EC2E9C4
	v_mfma_f32_16x16x16_f16 v[176:179], a[198:199], v[118:119], v[176:179]// 000000006D74: D3CD00B0 0EC2EDC6
	v_mfma_f32_16x16x16_f16 v[176:179], a[200:201], v[120:121], v[176:179]// 000000006D7C: D3CD00B0 0EC2F1C8
	v_mfma_f32_16x16x16_f16 v[176:179], a[202:203], v[122:123], v[176:179]// 000000006D84: D3CD00B0 0EC2F5CA
	buffer_load_dwordx4 a[164:167], v193, s[20:23], 0 offen offset:1024// 000000006D8C: E05C1400 8085A4C1
	v_mfma_f32_16x16x16_f16 v[176:179], a[204:205], v[124:125], v[176:179]// 000000006D94: D3CD00B0 0EC2F9CC
	v_mfma_f32_16x16x16_f16 v[176:179], a[206:207], v[126:127], v[176:179]// 000000006D9C: D3CD00B0 0EC2FDCE
	v_mfma_f32_16x16x16_f16 v[176:179], a[208:209], v[128:129], v[176:179]// 000000006DA4: D3CD00B0 0EC301D0
	v_mfma_f32_16x16x16_f16 v[176:179], a[210:211], v[130:131], v[176:179]// 000000006DAC: D3CD00B0 0EC305D2
	buffer_load_dwordx4 a[168:171], v194, s[20:23], 0 offen offset:1024// 000000006DB4: E05C1400 8085A8C2
	v_mfma_f32_16x16x16_f16 v[176:179], a[212:213], v[132:133], v[176:179]// 000000006DBC: D3CD00B0 0EC309D4
	v_mfma_f32_16x16x16_f16 v[176:179], a[214:215], v[134:135], v[176:179]// 000000006DC4: D3CD00B0 0EC30DD6
	v_mfma_f32_16x16x16_f16 v[176:179], a[216:217], v[136:137], v[176:179]// 000000006DCC: D3CD00B0 0EC311D8
	v_mfma_f32_16x16x16_f16 v[176:179], a[218:219], v[138:139], v[176:179]// 000000006DD4: D3CD00B0 0EC315DA
	buffer_load_dwordx4 a[172:175], v195, s[20:23], 0 offen offset:1024// 000000006DDC: E05C1400 8085ACC3
	v_mfma_f32_16x16x16_f16 v[176:179], a[220:221], v[140:141], v[176:179]// 000000006DE4: D3CD00B0 0EC319DC
	v_mfma_f32_16x16x16_f16 v[176:179], a[222:223], v[142:143], v[176:179]// 000000006DEC: D3CD00B0 0EC31DDE
	v_mfma_f32_16x16x16_f16 v[180:183], a[224:225], v[112:113], v[180:183]// 000000006DF4: D3CD00B4 0ED2E1E0
	v_mfma_f32_16x16x16_f16 v[180:183], a[226:227], v[114:115], v[180:183]// 000000006DFC: D3CD00B4 0ED2E5E2
	buffer_load_dwordx4 a[176:179], v196, s[20:23], 0 offen offset:1024// 000000006E04: E05C1400 8085B0C4
	v_mfma_f32_16x16x16_f16 v[180:183], a[228:229], v[116:117], v[180:183]// 000000006E0C: D3CD00B4 0ED2E9E4
	v_mfma_f32_16x16x16_f16 v[180:183], a[230:231], v[118:119], v[180:183]// 000000006E14: D3CD00B4 0ED2EDE6
	v_mfma_f32_16x16x16_f16 v[180:183], a[232:233], v[120:121], v[180:183]// 000000006E1C: D3CD00B4 0ED2F1E8
	v_mfma_f32_16x16x16_f16 v[180:183], a[234:235], v[122:123], v[180:183]// 000000006E24: D3CD00B4 0ED2F5EA
	buffer_load_dwordx4 a[180:183], v197, s[20:23], 0 offen offset:1024// 000000006E2C: E05C1400 8085B4C5
	v_mfma_f32_16x16x16_f16 v[180:183], a[236:237], v[124:125], v[180:183]// 000000006E34: D3CD00B4 0ED2F9EC
	v_mfma_f32_16x16x16_f16 v[180:183], a[238:239], v[126:127], v[180:183]// 000000006E3C: D3CD00B4 0ED2FDEE
	v_mfma_f32_16x16x16_f16 v[180:183], a[240:241], v[128:129], v[180:183]// 000000006E44: D3CD00B4 0ED301F0
	v_mfma_f32_16x16x16_f16 v[180:183], a[242:243], v[130:131], v[180:183]// 000000006E4C: D3CD00B4 0ED305F2
	buffer_load_dwordx4 a[184:187], v198, s[20:23], 0 offen offset:1024// 000000006E54: E05C1400 8085B8C6
	v_mfma_f32_16x16x16_f16 v[180:183], a[244:245], v[132:133], v[180:183]// 000000006E5C: D3CD00B4 0ED309F4
	v_mfma_f32_16x16x16_f16 v[180:183], a[246:247], v[134:135], v[180:183]// 000000006E64: D3CD00B4 0ED30DF6
	v_mfma_f32_16x16x16_f16 v[180:183], a[248:249], v[136:137], v[180:183]// 000000006E6C: D3CD00B4 0ED311F8
	v_mfma_f32_16x16x16_f16 v[180:183], a[250:251], v[138:139], v[180:183]// 000000006E74: D3CD00B4 0ED315FA
	buffer_load_dwordx4 a[188:191], v199, s[20:23], 0 offen offset:1024// 000000006E7C: E05C1400 8085BCC7
	v_mfma_f32_16x16x16_f16 v[180:183], a[252:253], v[140:141], v[180:183]// 000000006E84: D3CD00B4 0ED319FC
	v_mfma_f32_16x16x16_f16 v[180:183], a[254:255], v[142:143], v[180:183]// 000000006E8C: D3CD00B4 0ED31DFE
	s_lshr_b32 s60, s70, 4                                     // 000000006E94: 8F3C8446
	s_add_u32 s60, 48, s60                                     // 000000006E98: 803C3CB0
	s_cmp_ge_u32 s60, s73                                      // 000000006E9C: BF09493C
	s_cselect_b32 s56, 0, s56                                  // 000000006EA0: 85383880
	v_mul_u32_u24_dpp v39, v18, v54 row_newbcast:0 row_mask:0xf bank_mask:0xf// 000000006EA4: 104E6CFA FF015012
	v_mul_u32_u24_dpp v40, v18, v54 row_newbcast:4 row_mask:0xf bank_mask:0xf// 000000006EAC: 10506CFA FF015412
	v_mul_u32_u24_dpp v41, v18, v54 row_newbcast:8 row_mask:0xf bank_mask:0xf// 000000006EB4: 10526CFA FF015812
	v_mul_u32_u24_dpp v42, v18, v54 row_newbcast:12 row_mask:0xf bank_mask:0xf// 000000006EBC: 10546CFA FF015C12
	v_add_u32_e32 v27, v39, v6                                 // 000000006EC4: 68360D27
	v_add_u32_e32 v28, v40, v6                                 // 000000006EC8: 68380D28
	v_add_u32_e32 v29, v41, v6                                 // 000000006ECC: 683A0D29
	v_add_u32_e32 v30, v42, v6                                 // 000000006ED0: 683C0D2A
	v_mul_u32_u24_dpp v39, v18, v54 row_newbcast:1 row_mask:0xf bank_mask:0xf// 000000006ED4: 104E6CFA FF015112
	v_mul_u32_u24_dpp v40, v18, v54 row_newbcast:2 row_mask:0xf bank_mask:0xf// 000000006EDC: 10506CFA FF015212
	v_mul_u32_u24_dpp v41, v18, v54 row_newbcast:5 row_mask:0xf bank_mask:0xf// 000000006EE4: 10526CFA FF015512
	v_mul_u32_u24_dpp v42, v18, v54 row_newbcast:6 row_mask:0xf bank_mask:0xf// 000000006EEC: 10546CFA FF015612
	v_add_u32_e32 v200, v39, v7                                // 000000006EF4: 69900F27
	v_add_u32_e32 v201, v40, v7                                // 000000006EF8: 69920F28
	v_add_u32_e32 v202, v41, v7                                // 000000006EFC: 69940F29
	v_add_u32_e32 v203, v42, v7                                // 000000006F00: 69960F2A
	v_mul_u32_u24_dpp v39, v18, v54 row_newbcast:9 row_mask:0xf bank_mask:0xf// 000000006F04: 104E6CFA FF015912
	v_mul_u32_u24_dpp v40, v18, v54 row_newbcast:10 row_mask:0xf bank_mask:0xf// 000000006F0C: 10506CFA FF015A12
	v_mul_u32_u24_dpp v41, v18, v54 row_newbcast:13 row_mask:0xf bank_mask:0xf// 000000006F14: 10526CFA FF015D12
	v_mul_u32_u24_dpp v42, v18, v54 row_newbcast:7 row_mask:0xf bank_mask:0xf// 000000006F1C: 10546CFA FF015712
	v_add_u32_e32 v204, v39, v7                                // 000000006F24: 69980F27
	v_add_u32_e32 v205, v40, v7                                // 000000006F28: 699A0F28
	v_add_u32_e32 v206, v41, v7                                // 000000006F2C: 699C0F29
	v_add_u32_e32 v207, v42, v7                                // 000000006F30: 699E0F2A
	v_add_u32_e32 v1, s56, v1                                  // 000000006F34: 68020238
	s_addk_i32 s70, 0x100                                      // 000000006F38: B7460100
	s_cmp_lt_i32 s70, s71                                      // 000000006F3C: BF044746
	s_cbranch_scc0 label_1353                                  // 000000006F40: BF840001
	s_branch label_0FB4                                        // 000000006F44: BF82FC61

0000000000006f48 <label_1353>:
	s_nop 0                                                    // 000000006F48: BF800000
	s_nop 0                                                    // 000000006F4C: BF800000
	s_branch label_16F5                                        // 000000006F50: BF82039F

0000000000006f54 <label_1356>:
	s_waitcnt vmcnt(16) lgkmcnt(0)                             // 000000006F54: BF8C4070
	v_mfma_f32_16x16x16_f16 v[112:115], a[0:1], v[80:81], 0    // 000000006F58: D3CD0070 0A02A100
	buffer_load_dwordx4 a[64:67], v27, s[16:19], 0 offen       // 000000006F60: E05C1000 8084401B
	v_mfma_f32_16x16x16_f16 v[112:115], a[2:3], v[82:83], v[112:115]// 000000006F68: D3CD0070 0DC2A502
	v_mfma_f32_16x16x16_f16 v[112:115], a[4:5], v[84:85], v[112:115]// 000000006F70: D3CD0070 0DC2A904
	buffer_load_dword v17, v1, s[24:27], 0 offen               // 000000006F78: E0501000 80061101
	v_mfma_f32_16x16x16_f16 v[112:115], a[6:7], v[86:87], v[112:115]// 000000006F80: D3CD0070 0DC2AD06
	v_mfma_f32_16x16x16_f16 v[112:115], a[8:9], v[88:89], v[112:115]// 000000006F88: D3CD0070 0DC2B108
	buffer_load_dwordx4 a[68:71], v27, s[16:19], 0 offen offset:1024// 000000006F90: E05C1400 8084441B
	v_mfma_f32_16x16x16_f16 v[112:115], a[10:11], v[90:91], v[112:115]// 000000006F98: D3CD0070 0DC2B50A
	v_mfma_f32_16x16x16_f16 v[112:115], a[12:13], v[92:93], v[112:115]// 000000006FA0: D3CD0070 0DC2B90C
	v_mfma_f32_16x16x16_f16 v[112:115], a[14:15], v[94:95], v[112:115]// 000000006FA8: D3CD0070 0DC2BD0E
	v_mfma_f32_16x16x16_f16 v[116:119], a[16:17], v[80:81], 0  // 000000006FB0: D3CD0074 0A02A110
	buffer_load_dwordx4 a[72:75], v27, s[16:19], 0 offen offset:2048// 000000006FB8: E05C1800 8084481B
	v_mfma_f32_16x16x16_f16 v[116:119], a[18:19], v[82:83], v[116:119]// 000000006FC0: D3CD0074 0DD2A512
	v_mfma_f32_16x16x16_f16 v[116:119], a[20:21], v[84:85], v[116:119]// 000000006FC8: D3CD0074 0DD2A914
	v_mfma_f32_16x16x16_f16 v[116:119], a[22:23], v[86:87], v[116:119]// 000000006FD0: D3CD0074 0DD2AD16
	v_mfma_f32_16x16x16_f16 v[116:119], a[24:25], v[88:89], v[116:119]// 000000006FD8: D3CD0074 0DD2B118
	buffer_load_dwordx4 a[76:79], v27, s[16:19], 0 offen offset:3072// 000000006FE0: E05C1C00 80844C1B
	v_mfma_f32_16x16x16_f16 v[116:119], a[26:27], v[90:91], v[116:119]// 000000006FE8: D3CD0074 0DD2B51A
	v_mfma_f32_16x16x16_f16 v[116:119], a[28:29], v[92:93], v[116:119]// 000000006FF0: D3CD0074 0DD2B91C
	v_mfma_f32_16x16x16_f16 v[116:119], a[30:31], v[94:95], v[116:119]// 000000006FF8: D3CD0074 0DD2BD1E
	v_mfma_f32_16x16x16_f16 v[120:123], a[32:33], v[80:81], 0  // 000000007000: D3CD0078 0A02A120
	buffer_load_dwordx4 a[80:83], v28, s[16:19], 0 offen       // 000000007008: E05C1000 8084501C
	v_mfma_f32_16x16x16_f16 v[120:123], a[34:35], v[82:83], v[120:123]// 000000007010: D3CD0078 0DE2A522
	v_mfma_f32_16x16x16_f16 v[120:123], a[36:37], v[84:85], v[120:123]// 000000007018: D3CD0078 0DE2A924
	v_mfma_f32_16x16x16_f16 v[120:123], a[38:39], v[86:87], v[120:123]// 000000007020: D3CD0078 0DE2AD26
	v_mfma_f32_16x16x16_f16 v[120:123], a[40:41], v[88:89], v[120:123]// 000000007028: D3CD0078 0DE2B128
	buffer_load_dwordx4 a[84:87], v28, s[16:19], 0 offen offset:1024// 000000007030: E05C1400 8084541C
	v_mfma_f32_16x16x16_f16 v[120:123], a[42:43], v[90:91], v[120:123]// 000000007038: D3CD0078 0DE2B52A
	v_mfma_f32_16x16x16_f16 v[120:123], a[44:45], v[92:93], v[120:123]// 000000007040: D3CD0078 0DE2B92C
	v_mfma_f32_16x16x16_f16 v[120:123], a[46:47], v[94:95], v[120:123]// 000000007048: D3CD0078 0DE2BD2E
	v_mfma_f32_16x16x16_f16 v[124:127], a[48:49], v[80:81], 0  // 000000007050: D3CD007C 0A02A130
	buffer_load_dwordx4 a[88:91], v28, s[16:19], 0 offen offset:2048// 000000007058: E05C1800 8084581C
	v_mfma_f32_16x16x16_f16 v[124:127], a[50:51], v[82:83], v[124:127]// 000000007060: D3CD007C 0DF2A532
	v_mfma_f32_16x16x16_f16 v[124:127], a[52:53], v[84:85], v[124:127]// 000000007068: D3CD007C 0DF2A934
	v_mfma_f32_16x16x16_f16 v[124:127], a[54:55], v[86:87], v[124:127]// 000000007070: D3CD007C 0DF2AD36
	v_mfma_f32_16x16x16_f16 v[124:127], a[56:57], v[88:89], v[124:127]// 000000007078: D3CD007C 0DF2B138
	buffer_load_dwordx4 a[92:95], v28, s[16:19], 0 offen offset:3072// 000000007080: E05C1C00 80845C1C
	v_mfma_f32_16x16x16_f16 v[124:127], a[58:59], v[90:91], v[124:127]// 000000007088: D3CD007C 0DF2B53A
	v_mfma_f32_16x16x16_f16 v[124:127], a[60:61], v[92:93], v[124:127]// 000000007090: D3CD007C 0DF2B93C
	v_mfma_f32_16x16x16_f16 v[124:127], a[62:63], v[94:95], v[124:127]// 000000007098: D3CD007C 0DF2BD3E
	buffer_load_dwordx4 a[96:99], v29, s[16:19], 0 offen       // 0000000070A0: E05C1000 8084601D
	s_nop 8                                                    // 0000000070A8: BF800008
	buffer_load_dwordx4 a[100:103], v29, s[16:19], 0 offen offset:1024// 0000000070AC: E05C1400 8084641D
	v_mov_b32_e32 v50, v112                                    // 0000000070B4: 7E640370
	v_max3_f32 v50, v112, v113, v50                            // 0000000070B8: D1D30032 04CAE370
	v_max3_f32 v50, v114, v115, v50                            // 0000000070C0: D1D30032 04CAE772
	v_max3_f32 v50, v116, v117, v50                            // 0000000070C8: D1D30032 04CAEB74
	v_max3_f32 v50, v118, v119, v50                            // 0000000070D0: D1D30032 04CAEF76
	v_max3_f32 v50, v120, v121, v50                            // 0000000070D8: D1D30032 04CAF378
	v_max3_f32 v50, v122, v123, v50                            // 0000000070E0: D1D30032 04CAF77A
	v_max3_f32 v50, v124, v125, v50                            // 0000000070E8: D1D30032 04CAFB7C
	v_max3_f32 v50, v126, v127, v50                            // 0000000070F0: D1D30032 04CAFF7E
	ds_write_b32 v11, v50                                      // 0000000070F8: D81A0000 0000320B
	buffer_load_dwordx4 a[104:107], v29, s[16:19], 0 offen offset:2048// 000000007100: E05C1800 8084681D
	s_waitcnt lgkmcnt(0)                                       // 000000007108: BF8CC07F
	s_barrier                                                  // 00000000710C: BF8A0000
	ds_read_b32 v64, v10                                       // 000000007110: D86C0000 4000000A
	buffer_load_dwordx4 a[108:111], v29, s[16:19], 0 offen offset:3072// 000000007118: E05C1C00 80846C1D
	ds_read_b32 v65, v10 offset:64                             // 000000007120: D86C0040 4100000A
	ds_read_b32 v66, v10 offset:128                            // 000000007128: D86C0080 4200000A
	ds_read_b32 v67, v10 offset:192                            // 000000007130: D86C00C0 4300000A
	ds_read_b32 v68, v10 offset:256                            // 000000007138: D86C0100 4400000A
	ds_read_b32 v69, v10 offset:320                            // 000000007140: D86C0140 4500000A
	ds_read_b32 v70, v10 offset:384                            // 000000007148: D86C0180 4600000A
	ds_read_b32 v71, v10 offset:448                            // 000000007150: D86C01C0 4700000A
	ds_read_b32 v72, v10 offset:512                            // 000000007158: D86C0200 4800000A
	buffer_load_dwordx4 a[112:115], v30, s[16:19], 0 offen     // 000000007160: E05C1000 8084701E
	ds_read_b32 v73, v10 offset:576                            // 000000007168: D86C0240 4900000A
	ds_read_b32 v74, v10 offset:640                            // 000000007170: D86C0280 4A00000A
	ds_read_b32 v75, v10 offset:704                            // 000000007178: D86C02C0 4B00000A
	ds_read_b32 v76, v10 offset:768                            // 000000007180: D86C0300 4C00000A
	ds_read_b32 v77, v10 offset:832                            // 000000007188: D86C0340 4D00000A
	ds_read_b32 v78, v10 offset:896                            // 000000007190: D86C0380 4E00000A
	ds_read_b32 v79, v10 offset:960                            // 000000007198: D86C03C0 4F00000A
	buffer_load_dwordx4 a[116:119], v30, s[16:19], 0 offen offset:1024// 0000000071A0: E05C1400 8084741E
	buffer_load_dwordx4 a[120:123], v30, s[16:19], 0 offen offset:2048// 0000000071A8: E05C1800 8084781E
	s_waitcnt lgkmcnt(0)                                       // 0000000071B0: BF8CC07F
	v_max3_f32 v50, v64, v65, v50                              // 0000000071B4: D1D30032 04CA8340
	v_max3_f32 v50, v66, v67, v50                              // 0000000071BC: D1D30032 04CA8742
	v_max3_f32 v50, v68, v69, v50                              // 0000000071C4: D1D30032 04CA8B44
	v_max3_f32 v50, v70, v71, v50                              // 0000000071CC: D1D30032 04CA8F46
	v_max3_f32 v50, v72, v73, v50                              // 0000000071D4: D1D30032 04CA9348
	v_max3_f32 v50, v74, v75, v50                              // 0000000071DC: D1D30032 04CA974A
	v_max3_f32 v50, v76, v77, v50                              // 0000000071E4: D1D30032 04CA9B4C
	v_max3_f32 v50, v78, v79, v50                              // 0000000071EC: D1D30032 04CA9F4E
	buffer_load_dwordx4 a[124:127], v30, s[16:19], 0 offen offset:3072// 0000000071F4: E05C1C00 80847C1E
	v_cmp_eq_u32_e64 s[40:41], v55, v14                        // 0000000071FC: D0CA0028 00021D37
	s_nop 1                                                    // 000000007204: BF800001
	v_max_f32_e32 v16, v50, v14                                // 000000007208: 16201D32
	v_sub_f32_e32 v51, v14, v16                                // 00000000720C: 0466210E
	v_cndmask_b32_e64 v51, v51, 0, s[40:41]                    // 000000007210: D1000033 00A10133
	v_mov_b32_e32 v14, v16                                     // 000000007218: 7E1C0310
	v_mul_f32_e32 v53, s64, v16                                // 00000000721C: 0A6A2040
	v_mul_f32_e32 v51, s64, v51                                // 000000007220: 0A666640
	v_exp_f32_e32 v51, v51                                     // 000000007224: 7E664133
	buffer_load_dwordx4 a[192:195], v200, s[20:23], 0 offen    // 000000007228: E05C1000 8085C0C8
	v_fma_f32 v112, v112, s64, -v53                            // 000000007230: D1CB0070 84D48170
	v_fma_f32 v113, v113, s64, -v53                            // 000000007238: D1CB0071 84D48171
	v_fma_f32 v114, v114, s64, -v53                            // 000000007240: D1CB0072 84D48172
	v_fma_f32 v115, v115, s64, -v53                            // 000000007248: D1CB0073 84D48173
	v_fma_f32 v116, v116, s64, -v53                            // 000000007250: D1CB0074 84D48174
	v_fma_f32 v117, v117, s64, -v53                            // 000000007258: D1CB0075 84D48175
	v_fma_f32 v118, v118, s64, -v53                            // 000000007260: D1CB0076 84D48176
	v_fma_f32 v119, v119, s64, -v53                            // 000000007268: D1CB0077 84D48177
	v_fma_f32 v120, v120, s64, -v53                            // 000000007270: D1CB0078 84D48178
	v_fma_f32 v121, v121, s64, -v53                            // 000000007278: D1CB0079 84D48179
	v_fma_f32 v122, v122, s64, -v53                            // 000000007280: D1CB007A 84D4817A
	v_fma_f32 v123, v123, s64, -v53                            // 000000007288: D1CB007B 84D4817B
	v_fma_f32 v124, v124, s64, -v53                            // 000000007290: D1CB007C 84D4817C
	v_fma_f32 v125, v125, s64, -v53                            // 000000007298: D1CB007D 84D4817D
	v_fma_f32 v126, v126, s64, -v53                            // 0000000072A0: D1CB007E 84D4817E
	v_fma_f32 v127, v127, s64, -v53                            // 0000000072A8: D1CB007F 84D4817F
	v_exp_f32_e32 v112, v112                                   // 0000000072B0: 7EE04170
	v_exp_f32_e32 v113, v113                                   // 0000000072B4: 7EE24171
	v_exp_f32_e32 v114, v114                                   // 0000000072B8: 7EE44172
	v_exp_f32_e32 v115, v115                                   // 0000000072BC: 7EE64173
	v_exp_f32_e32 v116, v116                                   // 0000000072C0: 7EE84174
	v_exp_f32_e32 v117, v117                                   // 0000000072C4: 7EEA4175
	v_exp_f32_e32 v118, v118                                   // 0000000072C8: 7EEC4176
	v_exp_f32_e32 v119, v119                                   // 0000000072CC: 7EEE4177
	v_exp_f32_e32 v120, v120                                   // 0000000072D0: 7EF04178
	v_exp_f32_e32 v121, v121                                   // 0000000072D4: 7EF24179
	v_exp_f32_e32 v122, v122                                   // 0000000072D8: 7EF4417A
	v_exp_f32_e32 v123, v123                                   // 0000000072DC: 7EF6417B
	v_exp_f32_e32 v124, v124                                   // 0000000072E0: 7EF8417C
	v_exp_f32_e32 v125, v125                                   // 0000000072E4: 7EFA417D
	v_exp_f32_e32 v126, v126                                   // 0000000072E8: 7EFC417E
	v_exp_f32_e32 v127, v127                                   // 0000000072EC: 7EFE417F
	buffer_load_dwordx4 a[196:199], v201, s[20:23], 0 offen    // 0000000072F0: E05C1000 8085C4C9
	v_mul_f32_e32 v43, v51, v43                                // 0000000072F8: 0A565733
	v_mov_b32_e32 v45, v112                                    // 0000000072FC: 7E5A0370
	v_add_f32_e32 v45, v113, v45                               // 000000007300: 025A5B71
	v_add_f32_e32 v45, v114, v45                               // 000000007304: 025A5B72
	v_add_f32_e32 v45, v115, v45                               // 000000007308: 025A5B73
	v_add_f32_e32 v45, v116, v45                               // 00000000730C: 025A5B74
	v_add_f32_e32 v45, v117, v45                               // 000000007310: 025A5B75
	v_add_f32_e32 v45, v118, v45                               // 000000007314: 025A5B76
	v_add_f32_e32 v45, v119, v45                               // 000000007318: 025A5B77
	v_add_f32_e32 v45, v120, v45                               // 00000000731C: 025A5B78
	v_add_f32_e32 v45, v121, v45                               // 000000007320: 025A5B79
	v_add_f32_e32 v45, v122, v45                               // 000000007324: 025A5B7A
	v_add_f32_e32 v45, v123, v45                               // 000000007328: 025A5B7B
	v_add_f32_e32 v45, v124, v45                               // 00000000732C: 025A5B7C
	v_add_f32_e32 v45, v125, v45                               // 000000007330: 025A5B7D
	v_add_f32_e32 v45, v126, v45                               // 000000007334: 025A5B7E
	v_add_f32_e32 v45, v127, v45                               // 000000007338: 025A5B7F
	v_add_f32_e32 v43, v45, v43                                // 00000000733C: 0256572D
	buffer_load_dwordx4 a[200:203], v202, s[20:23], 0 offen    // 000000007340: E05C1000 8085C8CA
	v_cvt_pkrtz_f16_f32 v39, v112, v113                        // 000000007348: D2960027 0002E370
	v_mov_b32_e32 v112, v39                                    // 000000007350: 7EE00327
	v_cvt_pkrtz_f16_f32 v39, v114, v115                        // 000000007354: D2960027 0002E772
	v_mov_b32_e32 v113, v39                                    // 00000000735C: 7EE20327
	v_cvt_pkrtz_f16_f32 v39, v116, v117                        // 000000007360: D2960027 0002EB74
	v_mov_b32_e32 v114, v39                                    // 000000007368: 7EE40327
	v_cvt_pkrtz_f16_f32 v39, v118, v119                        // 00000000736C: D2960027 0002EF76
	v_mov_b32_e32 v115, v39                                    // 000000007374: 7EE60327
	v_cvt_pkrtz_f16_f32 v39, v120, v121                        // 000000007378: D2960027 0002F378
	v_mov_b32_e32 v116, v39                                    // 000000007380: 7EE80327
	v_cvt_pkrtz_f16_f32 v39, v122, v123                        // 000000007384: D2960027 0002F77A
	v_mov_b32_e32 v117, v39                                    // 00000000738C: 7EEA0327
	v_cvt_pkrtz_f16_f32 v39, v124, v125                        // 000000007390: D2960027 0002FB7C
	v_mov_b32_e32 v118, v39                                    // 000000007398: 7EEC0327
	v_cvt_pkrtz_f16_f32 v39, v126, v127                        // 00000000739C: D2960027 0002FF7E
	v_mov_b32_e32 v119, v39                                    // 0000000073A4: 7EEE0327
	buffer_load_dwordx4 a[204:207], v203, s[20:23], 0 offen    // 0000000073A8: E05C1000 8085CCCB
	buffer_load_dwordx4 a[208:211], v204, s[20:23], 0 offen    // 0000000073B0: E05C1000 8085D0CC
	ds_write_b64 v13, v[112:113] offset:4096                   // 0000000073B8: D89A1000 0000700D
	ds_write_b64 v13, v[114:115] offset:6144                   // 0000000073C0: D89A1800 0000720D
	ds_write_b64 v13, v[116:117] offset:8192                   // 0000000073C8: D89A2000 0000740D
	ds_write_b64 v13, v[118:119] offset:10240                  // 0000000073D0: D89A2800 0000760D
	buffer_load_dwordx4 a[212:215], v205, s[20:23], 0 offen    // 0000000073D8: E05C1000 8085D4CD
	s_waitcnt lgkmcnt(0)                                       // 0000000073E0: BF8CC07F
	s_barrier                                                  // 0000000073E4: BF8A0000
	ds_read_b64 v[112:113], v12 offset:4096                    // 0000000073E8: D8EC1000 7000000C
	ds_read_b64 v[114:115], v12 offset:4224                    // 0000000073F0: D8EC1080 7200000C
	ds_read_b64 v[116:117], v12 offset:5120                    // 0000000073F8: D8EC1400 7400000C
	ds_read_b64 v[118:119], v12 offset:5248                    // 000000007400: D8EC1480 7600000C
	ds_read_b64 v[120:121], v12 offset:6144                    // 000000007408: D8EC1800 7800000C
	ds_read_b64 v[122:123], v12 offset:6272                    // 000000007410: D8EC1880 7A00000C
	ds_read_b64 v[124:125], v12 offset:7168                    // 000000007418: D8EC1C00 7C00000C
	ds_read_b64 v[126:127], v12 offset:7296                    // 000000007420: D8EC1C80 7E00000C
	ds_read_b64 v[128:129], v12 offset:8192                    // 000000007428: D8EC2000 8000000C
	ds_read_b64 v[130:131], v12 offset:8320                    // 000000007430: D8EC2080 8200000C
	ds_read_b64 v[132:133], v12 offset:9216                    // 000000007438: D8EC2400 8400000C
	ds_read_b64 v[134:135], v12 offset:9344                    // 000000007440: D8EC2480 8600000C
	ds_read_b64 v[136:137], v12 offset:10240                   // 000000007448: D8EC2800 8800000C
	ds_read_b64 v[138:139], v12 offset:10368                   // 000000007450: D8EC2880 8A00000C
	ds_read_b64 v[140:141], v12 offset:11264                   // 000000007458: D8EC2C00 8C00000C
	ds_read_b64 v[142:143], v12 offset:11392                   // 000000007460: D8EC2C80 8E00000C
	buffer_load_dwordx4 a[216:219], v206, s[20:23], 0 offen    // 000000007468: E05C1000 8085D8CE
	buffer_load_dwordx4 a[220:223], v207, s[20:23], 0 offen    // 000000007470: E05C1000 8085DCCF
	s_waitcnt lgkmcnt(0)                                       // 000000007478: BF8CC07F
	v_mul_f32_e32 v176, v51, v176                              // 00000000747C: 0B616133
	v_mul_f32_e32 v177, v51, v177                              // 000000007480: 0B636333
	v_mul_f32_e32 v178, v51, v178                              // 000000007484: 0B656533
	v_mul_f32_e32 v179, v51, v179                              // 000000007488: 0B676733
	v_mul_f32_e32 v180, v51, v180                              // 00000000748C: 0B696933
	v_mul_f32_e32 v181, v51, v181                              // 000000007490: 0B6B6B33
	v_mul_f32_e32 v182, v51, v182                              // 000000007494: 0B6D6D33
	v_mul_f32_e32 v183, v51, v183                              // 000000007498: 0B6F6F33
	s_waitcnt vmcnt(24)                                        // 00000000749C: BF8C4F78
	v_mfma_f32_16x16x16_f16 v[176:179], a[128:129], v[112:113], v[176:179]// 0000000074A0: D3CD00B0 0EC2E180
	buffer_load_dwordx4 a[224:227], v200, s[20:23], 0 offen offset:1024// 0000000074A8: E05C1400 8085E0C8
	v_mfma_f32_16x16x16_f16 v[176:179], a[130:131], v[114:115], v[176:179]// 0000000074B0: D3CD00B0 0EC2E582
	v_mfma_f32_16x16x16_f16 v[176:179], a[132:133], v[116:117], v[176:179]// 0000000074B8: D3CD00B0 0EC2E984
	v_mfma_f32_16x16x16_f16 v[176:179], a[134:135], v[118:119], v[176:179]// 0000000074C0: D3CD00B0 0EC2ED86
	v_mfma_f32_16x16x16_f16 v[176:179], a[136:137], v[120:121], v[176:179]// 0000000074C8: D3CD00B0 0EC2F188
	buffer_load_dwordx4 a[228:231], v201, s[20:23], 0 offen offset:1024// 0000000074D0: E05C1400 8085E4C9
	v_mfma_f32_16x16x16_f16 v[176:179], a[138:139], v[122:123], v[176:179]// 0000000074D8: D3CD00B0 0EC2F58A
	v_mfma_f32_16x16x16_f16 v[176:179], a[140:141], v[124:125], v[176:179]// 0000000074E0: D3CD00B0 0EC2F98C
	v_mfma_f32_16x16x16_f16 v[176:179], a[142:143], v[126:127], v[176:179]// 0000000074E8: D3CD00B0 0EC2FD8E
	v_mfma_f32_16x16x16_f16 v[176:179], a[144:145], v[128:129], v[176:179]// 0000000074F0: D3CD00B0 0EC30190
	buffer_load_dwordx4 a[232:235], v202, s[20:23], 0 offen offset:1024// 0000000074F8: E05C1400 8085E8CA
	v_mfma_f32_16x16x16_f16 v[176:179], a[146:147], v[130:131], v[176:179]// 000000007500: D3CD00B0 0EC30592
	v_mfma_f32_16x16x16_f16 v[176:179], a[148:149], v[132:133], v[176:179]// 000000007508: D3CD00B0 0EC30994
	v_mfma_f32_16x16x16_f16 v[176:179], a[150:151], v[134:135], v[176:179]// 000000007510: D3CD00B0 0EC30D96
	v_mfma_f32_16x16x16_f16 v[176:179], a[152:153], v[136:137], v[176:179]// 000000007518: D3CD00B0 0EC31198
	buffer_load_dwordx4 a[236:239], v203, s[20:23], 0 offen offset:1024// 000000007520: E05C1400 8085ECCB
	v_mfma_f32_16x16x16_f16 v[176:179], a[154:155], v[138:139], v[176:179]// 000000007528: D3CD00B0 0EC3159A
	v_mfma_f32_16x16x16_f16 v[176:179], a[156:157], v[140:141], v[176:179]// 000000007530: D3CD00B0 0EC3199C
	v_mfma_f32_16x16x16_f16 v[176:179], a[158:159], v[142:143], v[176:179]// 000000007538: D3CD00B0 0EC31D9E
	v_mfma_f32_16x16x16_f16 v[180:183], a[160:161], v[112:113], v[180:183]// 000000007540: D3CD00B4 0ED2E1A0
	buffer_load_dwordx4 a[240:243], v204, s[20:23], 0 offen offset:1024// 000000007548: E05C1400 8085F0CC
	v_mfma_f32_16x16x16_f16 v[180:183], a[162:163], v[114:115], v[180:183]// 000000007550: D3CD00B4 0ED2E5A2
	v_mfma_f32_16x16x16_f16 v[180:183], a[164:165], v[116:117], v[180:183]// 000000007558: D3CD00B4 0ED2E9A4
	v_mfma_f32_16x16x16_f16 v[180:183], a[166:167], v[118:119], v[180:183]// 000000007560: D3CD00B4 0ED2EDA6
	v_mfma_f32_16x16x16_f16 v[180:183], a[168:169], v[120:121], v[180:183]// 000000007568: D3CD00B4 0ED2F1A8
	buffer_load_dwordx4 a[244:247], v205, s[20:23], 0 offen offset:1024// 000000007570: E05C1400 8085F4CD
	v_mfma_f32_16x16x16_f16 v[180:183], a[170:171], v[122:123], v[180:183]// 000000007578: D3CD00B4 0ED2F5AA
	v_mfma_f32_16x16x16_f16 v[180:183], a[172:173], v[124:125], v[180:183]// 000000007580: D3CD00B4 0ED2F9AC
	v_mfma_f32_16x16x16_f16 v[180:183], a[174:175], v[126:127], v[180:183]// 000000007588: D3CD00B4 0ED2FDAE
	v_mfma_f32_16x16x16_f16 v[180:183], a[176:177], v[128:129], v[180:183]// 000000007590: D3CD00B4 0ED301B0
	buffer_load_dwordx4 a[248:251], v206, s[20:23], 0 offen offset:1024// 000000007598: E05C1400 8085F8CE
	v_mfma_f32_16x16x16_f16 v[180:183], a[178:179], v[130:131], v[180:183]// 0000000075A0: D3CD00B4 0ED305B2
	v_mfma_f32_16x16x16_f16 v[180:183], a[180:181], v[132:133], v[180:183]// 0000000075A8: D3CD00B4 0ED309B4
	v_mfma_f32_16x16x16_f16 v[180:183], a[182:183], v[134:135], v[180:183]// 0000000075B0: D3CD00B4 0ED30DB6
	v_mfma_f32_16x16x16_f16 v[180:183], a[184:185], v[136:137], v[180:183]// 0000000075B8: D3CD00B4 0ED311B8
	buffer_load_dwordx4 a[252:255], v207, s[20:23], 0 offen offset:1024// 0000000075C0: E05C1400 8085FCCF
	v_mfma_f32_16x16x16_f16 v[180:183], a[186:187], v[138:139], v[180:183]// 0000000075C8: D3CD00B4 0ED315BA
	v_mfma_f32_16x16x16_f16 v[180:183], a[188:189], v[140:141], v[180:183]// 0000000075D0: D3CD00B4 0ED319BC
	v_mfma_f32_16x16x16_f16 v[180:183], a[190:191], v[142:143], v[180:183]// 0000000075D8: D3CD00B4 0ED31DBE
	s_lshr_b32 s60, s70, 4                                     // 0000000075E0: 8F3C8446
	s_add_u32 s60, 48, s60                                     // 0000000075E4: 803C3CB0
	s_cmp_ge_u32 s60, s73                                      // 0000000075E8: BF09493C
	s_cselect_b32 s56, 0, s56                                  // 0000000075EC: 85383880
	v_mul_u32_u24_dpp v39, v17, v54 row_newbcast:0 row_mask:0xf bank_mask:0xf// 0000000075F0: 104E6CFA FF015011
	v_mul_u32_u24_dpp v40, v17, v54 row_newbcast:4 row_mask:0xf bank_mask:0xf// 0000000075F8: 10506CFA FF015411
	v_mul_u32_u24_dpp v41, v17, v54 row_newbcast:8 row_mask:0xf bank_mask:0xf// 000000007600: 10526CFA FF015811
	v_mul_u32_u24_dpp v42, v17, v54 row_newbcast:12 row_mask:0xf bank_mask:0xf// 000000007608: 10546CFA FF015C11
	v_add_u32_e32 v23, v39, v6                                 // 000000007610: 682E0D27
	v_add_u32_e32 v24, v40, v6                                 // 000000007614: 68300D28
	v_add_u32_e32 v25, v41, v6                                 // 000000007618: 68320D29
	v_add_u32_e32 v26, v42, v6                                 // 00000000761C: 68340D2A
	v_mul_u32_u24_dpp v39, v17, v54 row_newbcast:1 row_mask:0xf bank_mask:0xf// 000000007620: 104E6CFA FF015111
	v_mul_u32_u24_dpp v40, v17, v54 row_newbcast:2 row_mask:0xf bank_mask:0xf// 000000007628: 10506CFA FF015211
	v_mul_u32_u24_dpp v41, v17, v54 row_newbcast:5 row_mask:0xf bank_mask:0xf// 000000007630: 10526CFA FF015511
	v_mul_u32_u24_dpp v42, v17, v54 row_newbcast:6 row_mask:0xf bank_mask:0xf// 000000007638: 10546CFA FF015611
	v_add_u32_e32 v192, v39, v7                                // 000000007640: 69800F27
	v_add_u32_e32 v193, v40, v7                                // 000000007644: 69820F28
	v_add_u32_e32 v194, v41, v7                                // 000000007648: 69840F29
	v_add_u32_e32 v195, v42, v7                                // 00000000764C: 69860F2A
	v_mul_u32_u24_dpp v39, v17, v54 row_newbcast:9 row_mask:0xf bank_mask:0xf// 000000007650: 104E6CFA FF015911
	v_mul_u32_u24_dpp v40, v17, v54 row_newbcast:10 row_mask:0xf bank_mask:0xf// 000000007658: 10506CFA FF015A11
	v_mul_u32_u24_dpp v41, v17, v54 row_newbcast:13 row_mask:0xf bank_mask:0xf// 000000007660: 10526CFA FF015D11
	v_mul_u32_u24_dpp v42, v17, v54 row_newbcast:7 row_mask:0xf bank_mask:0xf// 000000007668: 10546CFA FF015711
	v_add_u32_e32 v196, v39, v7                                // 000000007670: 69880F27
	v_add_u32_e32 v197, v40, v7                                // 000000007674: 698A0F28
	v_add_u32_e32 v198, v41, v7                                // 000000007678: 698C0F29
	v_add_u32_e32 v199, v42, v7                                // 00000000767C: 698E0F2A
	v_add_u32_e32 v1, s56, v1                                  // 000000007680: 68020238
	s_addk_i32 s70, 0x100                                      // 000000007684: B7460100
	s_cmp_lt_i32 s70, s71                                      // 000000007688: BF044746
	s_cbranch_scc0 label_1353                                  // 00000000768C: BF84FE2E
	s_waitcnt vmcnt(16) lgkmcnt(0)                             // 000000007690: BF8C4070
	v_mfma_f32_16x16x16_f16 v[112:115], a[64:65], v[80:81], 0  // 000000007694: D3CD0070 0A02A140
	buffer_load_dwordx4 a[0:3], v23, s[16:19], 0 offen         // 00000000769C: E05C1000 80840017
	v_mfma_f32_16x16x16_f16 v[112:115], a[66:67], v[82:83], v[112:115]// 0000000076A4: D3CD0070 0DC2A542
	v_mfma_f32_16x16x16_f16 v[112:115], a[68:69], v[84:85], v[112:115]// 0000000076AC: D3CD0070 0DC2A944
	buffer_load_dword v18, v1, s[24:27], 0 offen               // 0000000076B4: E0501000 80061201
	v_mfma_f32_16x16x16_f16 v[112:115], a[70:71], v[86:87], v[112:115]// 0000000076BC: D3CD0070 0DC2AD46
	v_mfma_f32_16x16x16_f16 v[112:115], a[72:73], v[88:89], v[112:115]// 0000000076C4: D3CD0070 0DC2B148
	buffer_load_dwordx4 a[4:7], v23, s[16:19], 0 offen offset:1024// 0000000076CC: E05C1400 80840417
	v_mfma_f32_16x16x16_f16 v[112:115], a[74:75], v[90:91], v[112:115]// 0000000076D4: D3CD0070 0DC2B54A
	v_mfma_f32_16x16x16_f16 v[112:115], a[76:77], v[92:93], v[112:115]// 0000000076DC: D3CD0070 0DC2B94C
	v_mfma_f32_16x16x16_f16 v[112:115], a[78:79], v[94:95], v[112:115]// 0000000076E4: D3CD0070 0DC2BD4E
	v_mfma_f32_16x16x16_f16 v[116:119], a[80:81], v[80:81], 0  // 0000000076EC: D3CD0074 0A02A150
	buffer_load_dwordx4 a[8:11], v23, s[16:19], 0 offen offset:2048// 0000000076F4: E05C1800 80840817
	v_mfma_f32_16x16x16_f16 v[116:119], a[82:83], v[82:83], v[116:119]// 0000000076FC: D3CD0074 0DD2A552
	v_mfma_f32_16x16x16_f16 v[116:119], a[84:85], v[84:85], v[116:119]// 000000007704: D3CD0074 0DD2A954
	v_mfma_f32_16x16x16_f16 v[116:119], a[86:87], v[86:87], v[116:119]// 00000000770C: D3CD0074 0DD2AD56
	v_mfma_f32_16x16x16_f16 v[116:119], a[88:89], v[88:89], v[116:119]// 000000007714: D3CD0074 0DD2B158
	buffer_load_dwordx4 a[12:15], v23, s[16:19], 0 offen offset:3072// 00000000771C: E05C1C00 80840C17
	v_mfma_f32_16x16x16_f16 v[116:119], a[90:91], v[90:91], v[116:119]// 000000007724: D3CD0074 0DD2B55A
	v_mfma_f32_16x16x16_f16 v[116:119], a[92:93], v[92:93], v[116:119]// 00000000772C: D3CD0074 0DD2B95C
	v_mfma_f32_16x16x16_f16 v[116:119], a[94:95], v[94:95], v[116:119]// 000000007734: D3CD0074 0DD2BD5E
	v_mfma_f32_16x16x16_f16 v[120:123], a[96:97], v[80:81], 0  // 00000000773C: D3CD0078 0A02A160
	buffer_load_dwordx4 a[16:19], v24, s[16:19], 0 offen       // 000000007744: E05C1000 80841018
	v_mfma_f32_16x16x16_f16 v[120:123], a[98:99], v[82:83], v[120:123]// 00000000774C: D3CD0078 0DE2A562
	v_mfma_f32_16x16x16_f16 v[120:123], a[100:101], v[84:85], v[120:123]// 000000007754: D3CD0078 0DE2A964
	v_mfma_f32_16x16x16_f16 v[120:123], a[102:103], v[86:87], v[120:123]// 00000000775C: D3CD0078 0DE2AD66
	v_mfma_f32_16x16x16_f16 v[120:123], a[104:105], v[88:89], v[120:123]// 000000007764: D3CD0078 0DE2B168
	buffer_load_dwordx4 a[20:23], v24, s[16:19], 0 offen offset:1024// 00000000776C: E05C1400 80841418
	v_mfma_f32_16x16x16_f16 v[120:123], a[106:107], v[90:91], v[120:123]// 000000007774: D3CD0078 0DE2B56A
	v_mfma_f32_16x16x16_f16 v[120:123], a[108:109], v[92:93], v[120:123]// 00000000777C: D3CD0078 0DE2B96C
	v_mfma_f32_16x16x16_f16 v[120:123], a[110:111], v[94:95], v[120:123]// 000000007784: D3CD0078 0DE2BD6E
	v_mfma_f32_16x16x16_f16 v[124:127], a[112:113], v[80:81], 0// 00000000778C: D3CD007C 0A02A170
	buffer_load_dwordx4 a[24:27], v24, s[16:19], 0 offen offset:2048// 000000007794: E05C1800 80841818
	v_mfma_f32_16x16x16_f16 v[124:127], a[114:115], v[82:83], v[124:127]// 00000000779C: D3CD007C 0DF2A572
	v_mfma_f32_16x16x16_f16 v[124:127], a[116:117], v[84:85], v[124:127]// 0000000077A4: D3CD007C 0DF2A974
	v_mfma_f32_16x16x16_f16 v[124:127], a[118:119], v[86:87], v[124:127]// 0000000077AC: D3CD007C 0DF2AD76
	v_mfma_f32_16x16x16_f16 v[124:127], a[120:121], v[88:89], v[124:127]// 0000000077B4: D3CD007C 0DF2B178
	buffer_load_dwordx4 a[28:31], v24, s[16:19], 0 offen offset:3072// 0000000077BC: E05C1C00 80841C18
	v_mfma_f32_16x16x16_f16 v[124:127], a[122:123], v[90:91], v[124:127]// 0000000077C4: D3CD007C 0DF2B57A
	v_mfma_f32_16x16x16_f16 v[124:127], a[124:125], v[92:93], v[124:127]// 0000000077CC: D3CD007C 0DF2B97C
	v_mfma_f32_16x16x16_f16 v[124:127], a[126:127], v[94:95], v[124:127]// 0000000077D4: D3CD007C 0DF2BD7E
	buffer_load_dwordx4 a[32:35], v25, s[16:19], 0 offen       // 0000000077DC: E05C1000 80842019
	s_nop 8                                                    // 0000000077E4: BF800008
	buffer_load_dwordx4 a[36:39], v25, s[16:19], 0 offen offset:1024// 0000000077E8: E05C1400 80842419
	v_mov_b32_e32 v50, v112                                    // 0000000077F0: 7E640370
	v_max3_f32 v50, v112, v113, v50                            // 0000000077F4: D1D30032 04CAE370
	v_max3_f32 v50, v114, v115, v50                            // 0000000077FC: D1D30032 04CAE772
	v_max3_f32 v50, v116, v117, v50                            // 000000007804: D1D30032 04CAEB74
	v_max3_f32 v50, v118, v119, v50                            // 00000000780C: D1D30032 04CAEF76
	v_max3_f32 v50, v120, v121, v50                            // 000000007814: D1D30032 04CAF378
	v_max3_f32 v50, v122, v123, v50                            // 00000000781C: D1D30032 04CAF77A
	v_max3_f32 v50, v124, v125, v50                            // 000000007824: D1D30032 04CAFB7C
	v_max3_f32 v50, v126, v127, v50                            // 00000000782C: D1D30032 04CAFF7E
	ds_write_b32 v11, v50                                      // 000000007834: D81A0000 0000320B
	buffer_load_dwordx4 a[40:43], v25, s[16:19], 0 offen offset:2048// 00000000783C: E05C1800 80842819
	s_waitcnt lgkmcnt(0)                                       // 000000007844: BF8CC07F
	s_barrier                                                  // 000000007848: BF8A0000
	ds_read_b32 v64, v10                                       // 00000000784C: D86C0000 4000000A
	buffer_load_dwordx4 a[44:47], v25, s[16:19], 0 offen offset:3072// 000000007854: E05C1C00 80842C19
	ds_read_b32 v65, v10 offset:64                             // 00000000785C: D86C0040 4100000A
	ds_read_b32 v66, v10 offset:128                            // 000000007864: D86C0080 4200000A
	ds_read_b32 v67, v10 offset:192                            // 00000000786C: D86C00C0 4300000A
	ds_read_b32 v68, v10 offset:256                            // 000000007874: D86C0100 4400000A
	ds_read_b32 v69, v10 offset:320                            // 00000000787C: D86C0140 4500000A
	ds_read_b32 v70, v10 offset:384                            // 000000007884: D86C0180 4600000A
	ds_read_b32 v71, v10 offset:448                            // 00000000788C: D86C01C0 4700000A
	ds_read_b32 v72, v10 offset:512                            // 000000007894: D86C0200 4800000A
	buffer_load_dwordx4 a[48:51], v26, s[16:19], 0 offen       // 00000000789C: E05C1000 8084301A
	ds_read_b32 v73, v10 offset:576                            // 0000000078A4: D86C0240 4900000A
	ds_read_b32 v74, v10 offset:640                            // 0000000078AC: D86C0280 4A00000A
	ds_read_b32 v75, v10 offset:704                            // 0000000078B4: D86C02C0 4B00000A
	ds_read_b32 v76, v10 offset:768                            // 0000000078BC: D86C0300 4C00000A
	ds_read_b32 v77, v10 offset:832                            // 0000000078C4: D86C0340 4D00000A
	ds_read_b32 v78, v10 offset:896                            // 0000000078CC: D86C0380 4E00000A
	ds_read_b32 v79, v10 offset:960                            // 0000000078D4: D86C03C0 4F00000A
	buffer_load_dwordx4 a[52:55], v26, s[16:19], 0 offen offset:1024// 0000000078DC: E05C1400 8084341A
	buffer_load_dwordx4 a[56:59], v26, s[16:19], 0 offen offset:2048// 0000000078E4: E05C1800 8084381A
	s_waitcnt lgkmcnt(0)                                       // 0000000078EC: BF8CC07F
	v_max3_f32 v50, v64, v65, v50                              // 0000000078F0: D1D30032 04CA8340
	v_max3_f32 v50, v66, v67, v50                              // 0000000078F8: D1D30032 04CA8742
	v_max3_f32 v50, v68, v69, v50                              // 000000007900: D1D30032 04CA8B44
	v_max3_f32 v50, v70, v71, v50                              // 000000007908: D1D30032 04CA8F46
	v_max3_f32 v50, v72, v73, v50                              // 000000007910: D1D30032 04CA9348
	v_max3_f32 v50, v74, v75, v50                              // 000000007918: D1D30032 04CA974A
	v_max3_f32 v50, v76, v77, v50                              // 000000007920: D1D30032 04CA9B4C
	v_max3_f32 v50, v78, v79, v50                              // 000000007928: D1D30032 04CA9F4E
	buffer_load_dwordx4 a[60:63], v26, s[16:19], 0 offen offset:3072// 000000007930: E05C1C00 80843C1A
	v_cmp_eq_u32_e64 s[40:41], v55, v14                        // 000000007938: D0CA0028 00021D37
	s_nop 1                                                    // 000000007940: BF800001
	v_max_f32_e32 v16, v50, v14                                // 000000007944: 16201D32
	v_sub_f32_e32 v51, v14, v16                                // 000000007948: 0466210E
	v_cndmask_b32_e64 v51, v51, 0, s[40:41]                    // 00000000794C: D1000033 00A10133
	v_mov_b32_e32 v14, v16                                     // 000000007954: 7E1C0310
	v_mul_f32_e32 v53, s64, v16                                // 000000007958: 0A6A2040
	v_mul_f32_e32 v51, s64, v51                                // 00000000795C: 0A666640
	v_exp_f32_e32 v51, v51                                     // 000000007960: 7E664133
	buffer_load_dwordx4 a[128:131], v192, s[20:23], 0 offen    // 000000007964: E05C1000 808580C0
	v_fma_f32 v112, v112, s64, -v53                            // 00000000796C: D1CB0070 84D48170
	v_fma_f32 v113, v113, s64, -v53                            // 000000007974: D1CB0071 84D48171
	v_fma_f32 v114, v114, s64, -v53                            // 00000000797C: D1CB0072 84D48172
	v_fma_f32 v115, v115, s64, -v53                            // 000000007984: D1CB0073 84D48173
	v_fma_f32 v116, v116, s64, -v53                            // 00000000798C: D1CB0074 84D48174
	v_fma_f32 v117, v117, s64, -v53                            // 000000007994: D1CB0075 84D48175
	v_fma_f32 v118, v118, s64, -v53                            // 00000000799C: D1CB0076 84D48176
	v_fma_f32 v119, v119, s64, -v53                            // 0000000079A4: D1CB0077 84D48177
	v_fma_f32 v120, v120, s64, -v53                            // 0000000079AC: D1CB0078 84D48178
	v_fma_f32 v121, v121, s64, -v53                            // 0000000079B4: D1CB0079 84D48179
	v_fma_f32 v122, v122, s64, -v53                            // 0000000079BC: D1CB007A 84D4817A
	v_fma_f32 v123, v123, s64, -v53                            // 0000000079C4: D1CB007B 84D4817B
	v_fma_f32 v124, v124, s64, -v53                            // 0000000079CC: D1CB007C 84D4817C
	v_fma_f32 v125, v125, s64, -v53                            // 0000000079D4: D1CB007D 84D4817D
	v_fma_f32 v126, v126, s64, -v53                            // 0000000079DC: D1CB007E 84D4817E
	v_fma_f32 v127, v127, s64, -v53                            // 0000000079E4: D1CB007F 84D4817F
	v_exp_f32_e32 v112, v112                                   // 0000000079EC: 7EE04170
	v_exp_f32_e32 v113, v113                                   // 0000000079F0: 7EE24171
	v_exp_f32_e32 v114, v114                                   // 0000000079F4: 7EE44172
	v_exp_f32_e32 v115, v115                                   // 0000000079F8: 7EE64173
	v_exp_f32_e32 v116, v116                                   // 0000000079FC: 7EE84174
	v_exp_f32_e32 v117, v117                                   // 000000007A00: 7EEA4175
	v_exp_f32_e32 v118, v118                                   // 000000007A04: 7EEC4176
	v_exp_f32_e32 v119, v119                                   // 000000007A08: 7EEE4177
	v_exp_f32_e32 v120, v120                                   // 000000007A0C: 7EF04178
	v_exp_f32_e32 v121, v121                                   // 000000007A10: 7EF24179
	v_exp_f32_e32 v122, v122                                   // 000000007A14: 7EF4417A
	v_exp_f32_e32 v123, v123                                   // 000000007A18: 7EF6417B
	v_exp_f32_e32 v124, v124                                   // 000000007A1C: 7EF8417C
	v_exp_f32_e32 v125, v125                                   // 000000007A20: 7EFA417D
	v_exp_f32_e32 v126, v126                                   // 000000007A24: 7EFC417E
	v_exp_f32_e32 v127, v127                                   // 000000007A28: 7EFE417F
	buffer_load_dwordx4 a[132:135], v193, s[20:23], 0 offen    // 000000007A2C: E05C1000 808584C1
	v_mul_f32_e32 v43, v51, v43                                // 000000007A34: 0A565733
	v_mov_b32_e32 v45, v112                                    // 000000007A38: 7E5A0370
	v_add_f32_e32 v45, v113, v45                               // 000000007A3C: 025A5B71
	v_add_f32_e32 v45, v114, v45                               // 000000007A40: 025A5B72
	v_add_f32_e32 v45, v115, v45                               // 000000007A44: 025A5B73
	v_add_f32_e32 v45, v116, v45                               // 000000007A48: 025A5B74
	v_add_f32_e32 v45, v117, v45                               // 000000007A4C: 025A5B75
	v_add_f32_e32 v45, v118, v45                               // 000000007A50: 025A5B76
	v_add_f32_e32 v45, v119, v45                               // 000000007A54: 025A5B77
	v_add_f32_e32 v45, v120, v45                               // 000000007A58: 025A5B78
	v_add_f32_e32 v45, v121, v45                               // 000000007A5C: 025A5B79
	v_add_f32_e32 v45, v122, v45                               // 000000007A60: 025A5B7A
	v_add_f32_e32 v45, v123, v45                               // 000000007A64: 025A5B7B
	v_add_f32_e32 v45, v124, v45                               // 000000007A68: 025A5B7C
	v_add_f32_e32 v45, v125, v45                               // 000000007A6C: 025A5B7D
	v_add_f32_e32 v45, v126, v45                               // 000000007A70: 025A5B7E
	v_add_f32_e32 v45, v127, v45                               // 000000007A74: 025A5B7F
	v_add_f32_e32 v43, v45, v43                                // 000000007A78: 0256572D
	buffer_load_dwordx4 a[136:139], v194, s[20:23], 0 offen    // 000000007A7C: E05C1000 808588C2
	v_cvt_pkrtz_f16_f32 v39, v112, v113                        // 000000007A84: D2960027 0002E370
	v_mov_b32_e32 v112, v39                                    // 000000007A8C: 7EE00327
	v_cvt_pkrtz_f16_f32 v39, v114, v115                        // 000000007A90: D2960027 0002E772
	v_mov_b32_e32 v113, v39                                    // 000000007A98: 7EE20327
	v_cvt_pkrtz_f16_f32 v39, v116, v117                        // 000000007A9C: D2960027 0002EB74
	v_mov_b32_e32 v114, v39                                    // 000000007AA4: 7EE40327
	v_cvt_pkrtz_f16_f32 v39, v118, v119                        // 000000007AA8: D2960027 0002EF76
	v_mov_b32_e32 v115, v39                                    // 000000007AB0: 7EE60327
	v_cvt_pkrtz_f16_f32 v39, v120, v121                        // 000000007AB4: D2960027 0002F378
	v_mov_b32_e32 v116, v39                                    // 000000007ABC: 7EE80327
	v_cvt_pkrtz_f16_f32 v39, v122, v123                        // 000000007AC0: D2960027 0002F77A
	v_mov_b32_e32 v117, v39                                    // 000000007AC8: 7EEA0327
	v_cvt_pkrtz_f16_f32 v39, v124, v125                        // 000000007ACC: D2960027 0002FB7C
	v_mov_b32_e32 v118, v39                                    // 000000007AD4: 7EEC0327
	v_cvt_pkrtz_f16_f32 v39, v126, v127                        // 000000007AD8: D2960027 0002FF7E
	v_mov_b32_e32 v119, v39                                    // 000000007AE0: 7EEE0327
	buffer_load_dwordx4 a[140:143], v195, s[20:23], 0 offen    // 000000007AE4: E05C1000 80858CC3
	buffer_load_dwordx4 a[144:147], v196, s[20:23], 0 offen    // 000000007AEC: E05C1000 808590C4
	ds_write_b64 v13, v[112:113] offset:4096                   // 000000007AF4: D89A1000 0000700D
	ds_write_b64 v13, v[114:115] offset:6144                   // 000000007AFC: D89A1800 0000720D
	ds_write_b64 v13, v[116:117] offset:8192                   // 000000007B04: D89A2000 0000740D
	ds_write_b64 v13, v[118:119] offset:10240                  // 000000007B0C: D89A2800 0000760D
	buffer_load_dwordx4 a[148:151], v197, s[20:23], 0 offen    // 000000007B14: E05C1000 808594C5
	s_waitcnt lgkmcnt(0)                                       // 000000007B1C: BF8CC07F
	s_barrier                                                  // 000000007B20: BF8A0000
	ds_read_b64 v[112:113], v12 offset:4096                    // 000000007B24: D8EC1000 7000000C
	ds_read_b64 v[114:115], v12 offset:4224                    // 000000007B2C: D8EC1080 7200000C
	ds_read_b64 v[116:117], v12 offset:5120                    // 000000007B34: D8EC1400 7400000C
	ds_read_b64 v[118:119], v12 offset:5248                    // 000000007B3C: D8EC1480 7600000C
	ds_read_b64 v[120:121], v12 offset:6144                    // 000000007B44: D8EC1800 7800000C
	ds_read_b64 v[122:123], v12 offset:6272                    // 000000007B4C: D8EC1880 7A00000C
	ds_read_b64 v[124:125], v12 offset:7168                    // 000000007B54: D8EC1C00 7C00000C
	ds_read_b64 v[126:127], v12 offset:7296                    // 000000007B5C: D8EC1C80 7E00000C
	ds_read_b64 v[128:129], v12 offset:8192                    // 000000007B64: D8EC2000 8000000C
	ds_read_b64 v[130:131], v12 offset:8320                    // 000000007B6C: D8EC2080 8200000C
	ds_read_b64 v[132:133], v12 offset:9216                    // 000000007B74: D8EC2400 8400000C
	ds_read_b64 v[134:135], v12 offset:9344                    // 000000007B7C: D8EC2480 8600000C
	ds_read_b64 v[136:137], v12 offset:10240                   // 000000007B84: D8EC2800 8800000C
	ds_read_b64 v[138:139], v12 offset:10368                   // 000000007B8C: D8EC2880 8A00000C
	ds_read_b64 v[140:141], v12 offset:11264                   // 000000007B94: D8EC2C00 8C00000C
	ds_read_b64 v[142:143], v12 offset:11392                   // 000000007B9C: D8EC2C80 8E00000C
	buffer_load_dwordx4 a[152:155], v198, s[20:23], 0 offen    // 000000007BA4: E05C1000 808598C6
	buffer_load_dwordx4 a[156:159], v199, s[20:23], 0 offen    // 000000007BAC: E05C1000 80859CC7
	s_waitcnt lgkmcnt(0)                                       // 000000007BB4: BF8CC07F
	v_mul_f32_e32 v176, v51, v176                              // 000000007BB8: 0B616133
	v_mul_f32_e32 v177, v51, v177                              // 000000007BBC: 0B636333
	v_mul_f32_e32 v178, v51, v178                              // 000000007BC0: 0B656533
	v_mul_f32_e32 v179, v51, v179                              // 000000007BC4: 0B676733
	v_mul_f32_e32 v180, v51, v180                              // 000000007BC8: 0B696933
	v_mul_f32_e32 v181, v51, v181                              // 000000007BCC: 0B6B6B33
	v_mul_f32_e32 v182, v51, v182                              // 000000007BD0: 0B6D6D33
	v_mul_f32_e32 v183, v51, v183                              // 000000007BD4: 0B6F6F33
	s_waitcnt vmcnt(24)                                        // 000000007BD8: BF8C4F78
	v_mfma_f32_16x16x16_f16 v[176:179], a[192:193], v[112:113], v[176:179]// 000000007BDC: D3CD00B0 0EC2E1C0
	buffer_load_dwordx4 a[160:163], v192, s[20:23], 0 offen offset:1024// 000000007BE4: E05C1400 8085A0C0
	v_mfma_f32_16x16x16_f16 v[176:179], a[194:195], v[114:115], v[176:179]// 000000007BEC: D3CD00B0 0EC2E5C2
	v_mfma_f32_16x16x16_f16 v[176:179], a[196:197], v[116:117], v[176:179]// 000000007BF4: D3CD00B0 0EC2E9C4
	v_mfma_f32_16x16x16_f16 v[176:179], a[198:199], v[118:119], v[176:179]// 000000007BFC: D3CD00B0 0EC2EDC6
	v_mfma_f32_16x16x16_f16 v[176:179], a[200:201], v[120:121], v[176:179]// 000000007C04: D3CD00B0 0EC2F1C8
	buffer_load_dwordx4 a[164:167], v193, s[20:23], 0 offen offset:1024// 000000007C0C: E05C1400 8085A4C1
	v_mfma_f32_16x16x16_f16 v[176:179], a[202:203], v[122:123], v[176:179]// 000000007C14: D3CD00B0 0EC2F5CA
	v_mfma_f32_16x16x16_f16 v[176:179], a[204:205], v[124:125], v[176:179]// 000000007C1C: D3CD00B0 0EC2F9CC
	v_mfma_f32_16x16x16_f16 v[176:179], a[206:207], v[126:127], v[176:179]// 000000007C24: D3CD00B0 0EC2FDCE
	v_mfma_f32_16x16x16_f16 v[176:179], a[208:209], v[128:129], v[176:179]// 000000007C2C: D3CD00B0 0EC301D0
	buffer_load_dwordx4 a[168:171], v194, s[20:23], 0 offen offset:1024// 000000007C34: E05C1400 8085A8C2
	v_mfma_f32_16x16x16_f16 v[176:179], a[210:211], v[130:131], v[176:179]// 000000007C3C: D3CD00B0 0EC305D2
	v_mfma_f32_16x16x16_f16 v[176:179], a[212:213], v[132:133], v[176:179]// 000000007C44: D3CD00B0 0EC309D4
	v_mfma_f32_16x16x16_f16 v[176:179], a[214:215], v[134:135], v[176:179]// 000000007C4C: D3CD00B0 0EC30DD6
	v_mfma_f32_16x16x16_f16 v[176:179], a[216:217], v[136:137], v[176:179]// 000000007C54: D3CD00B0 0EC311D8
	buffer_load_dwordx4 a[172:175], v195, s[20:23], 0 offen offset:1024// 000000007C5C: E05C1400 8085ACC3
	v_mfma_f32_16x16x16_f16 v[176:179], a[218:219], v[138:139], v[176:179]// 000000007C64: D3CD00B0 0EC315DA
	v_mfma_f32_16x16x16_f16 v[176:179], a[220:221], v[140:141], v[176:179]// 000000007C6C: D3CD00B0 0EC319DC
	v_mfma_f32_16x16x16_f16 v[176:179], a[222:223], v[142:143], v[176:179]// 000000007C74: D3CD00B0 0EC31DDE
	v_mfma_f32_16x16x16_f16 v[180:183], a[224:225], v[112:113], v[180:183]// 000000007C7C: D3CD00B4 0ED2E1E0
	buffer_load_dwordx4 a[176:179], v196, s[20:23], 0 offen offset:1024// 000000007C84: E05C1400 8085B0C4
	v_mfma_f32_16x16x16_f16 v[180:183], a[226:227], v[114:115], v[180:183]// 000000007C8C: D3CD00B4 0ED2E5E2
	v_mfma_f32_16x16x16_f16 v[180:183], a[228:229], v[116:117], v[180:183]// 000000007C94: D3CD00B4 0ED2E9E4
	v_mfma_f32_16x16x16_f16 v[180:183], a[230:231], v[118:119], v[180:183]// 000000007C9C: D3CD00B4 0ED2EDE6
	v_mfma_f32_16x16x16_f16 v[180:183], a[232:233], v[120:121], v[180:183]// 000000007CA4: D3CD00B4 0ED2F1E8
	buffer_load_dwordx4 a[180:183], v197, s[20:23], 0 offen offset:1024// 000000007CAC: E05C1400 8085B4C5
	v_mfma_f32_16x16x16_f16 v[180:183], a[234:235], v[122:123], v[180:183]// 000000007CB4: D3CD00B4 0ED2F5EA
	v_mfma_f32_16x16x16_f16 v[180:183], a[236:237], v[124:125], v[180:183]// 000000007CBC: D3CD00B4 0ED2F9EC
	v_mfma_f32_16x16x16_f16 v[180:183], a[238:239], v[126:127], v[180:183]// 000000007CC4: D3CD00B4 0ED2FDEE
	v_mfma_f32_16x16x16_f16 v[180:183], a[240:241], v[128:129], v[180:183]// 000000007CCC: D3CD00B4 0ED301F0
	buffer_load_dwordx4 a[184:187], v198, s[20:23], 0 offen offset:1024// 000000007CD4: E05C1400 8085B8C6
	v_mfma_f32_16x16x16_f16 v[180:183], a[242:243], v[130:131], v[180:183]// 000000007CDC: D3CD00B4 0ED305F2
	v_mfma_f32_16x16x16_f16 v[180:183], a[244:245], v[132:133], v[180:183]// 000000007CE4: D3CD00B4 0ED309F4
	v_mfma_f32_16x16x16_f16 v[180:183], a[246:247], v[134:135], v[180:183]// 000000007CEC: D3CD00B4 0ED30DF6
	v_mfma_f32_16x16x16_f16 v[180:183], a[248:249], v[136:137], v[180:183]// 000000007CF4: D3CD00B4 0ED311F8
	buffer_load_dwordx4 a[188:191], v199, s[20:23], 0 offen offset:1024// 000000007CFC: E05C1400 8085BCC7
	v_mfma_f32_16x16x16_f16 v[180:183], a[250:251], v[138:139], v[180:183]// 000000007D04: D3CD00B4 0ED315FA
	v_mfma_f32_16x16x16_f16 v[180:183], a[252:253], v[140:141], v[180:183]// 000000007D0C: D3CD00B4 0ED319FC
	v_mfma_f32_16x16x16_f16 v[180:183], a[254:255], v[142:143], v[180:183]// 000000007D14: D3CD00B4 0ED31DFE
	s_lshr_b32 s60, s70, 4                                     // 000000007D1C: 8F3C8446
	s_add_u32 s60, 48, s60                                     // 000000007D20: 803C3CB0
	s_cmp_ge_u32 s60, s73                                      // 000000007D24: BF09493C
	s_cselect_b32 s56, 0, s56                                  // 000000007D28: 85383880
	v_mul_u32_u24_dpp v39, v18, v54 row_newbcast:0 row_mask:0xf bank_mask:0xf// 000000007D2C: 104E6CFA FF015012
	v_mul_u32_u24_dpp v40, v18, v54 row_newbcast:4 row_mask:0xf bank_mask:0xf// 000000007D34: 10506CFA FF015412
	v_mul_u32_u24_dpp v41, v18, v54 row_newbcast:8 row_mask:0xf bank_mask:0xf// 000000007D3C: 10526CFA FF015812
	v_mul_u32_u24_dpp v42, v18, v54 row_newbcast:12 row_mask:0xf bank_mask:0xf// 000000007D44: 10546CFA FF015C12
	v_add_u32_e32 v27, v39, v6                                 // 000000007D4C: 68360D27
	v_add_u32_e32 v28, v40, v6                                 // 000000007D50: 68380D28
	v_add_u32_e32 v29, v41, v6                                 // 000000007D54: 683A0D29
	v_add_u32_e32 v30, v42, v6                                 // 000000007D58: 683C0D2A
	v_mul_u32_u24_dpp v39, v18, v54 row_newbcast:1 row_mask:0xf bank_mask:0xf// 000000007D5C: 104E6CFA FF015112
	v_mul_u32_u24_dpp v40, v18, v54 row_newbcast:2 row_mask:0xf bank_mask:0xf// 000000007D64: 10506CFA FF015212
	v_mul_u32_u24_dpp v41, v18, v54 row_newbcast:5 row_mask:0xf bank_mask:0xf// 000000007D6C: 10526CFA FF015512
	v_mul_u32_u24_dpp v42, v18, v54 row_newbcast:6 row_mask:0xf bank_mask:0xf// 000000007D74: 10546CFA FF015612
	v_add_u32_e32 v200, v39, v7                                // 000000007D7C: 69900F27
	v_add_u32_e32 v201, v40, v7                                // 000000007D80: 69920F28
	v_add_u32_e32 v202, v41, v7                                // 000000007D84: 69940F29
	v_add_u32_e32 v203, v42, v7                                // 000000007D88: 69960F2A
	v_mul_u32_u24_dpp v39, v18, v54 row_newbcast:9 row_mask:0xf bank_mask:0xf// 000000007D8C: 104E6CFA FF015912
	v_mul_u32_u24_dpp v40, v18, v54 row_newbcast:10 row_mask:0xf bank_mask:0xf// 000000007D94: 10506CFA FF015A12
	v_mul_u32_u24_dpp v41, v18, v54 row_newbcast:13 row_mask:0xf bank_mask:0xf// 000000007D9C: 10526CFA FF015D12
	v_mul_u32_u24_dpp v42, v18, v54 row_newbcast:7 row_mask:0xf bank_mask:0xf// 000000007DA4: 10546CFA FF015712
	v_add_u32_e32 v204, v39, v7                                // 000000007DAC: 69980F27
	v_add_u32_e32 v205, v40, v7                                // 000000007DB0: 699A0F28
	v_add_u32_e32 v206, v41, v7                                // 000000007DB4: 699C0F29
	v_add_u32_e32 v207, v42, v7                                // 000000007DB8: 699E0F2A
	v_add_u32_e32 v1, s56, v1                                  // 000000007DBC: 68020238
	s_addk_i32 s70, 0x100                                      // 000000007DC0: B7460100
	s_cmp_lt_i32 s70, s71                                      // 000000007DC4: BF044746
	s_cbranch_scc0 label_1353                                  // 000000007DC8: BF84FC5F
	s_branch label_1356                                        // 000000007DCC: BF82FC61

0000000000007dd0 <label_16F5>:
	s_lshr_b32 s60, s71, 4                                     // 000000007DD0: 8F3C8447
	s_cmp_eq_i32 s60, s73                                      // 000000007DD4: BF00493C
	s_cbranch_scc1 label_1A9E                                  // 000000007DD8: BF8503A6

0000000000007ddc <label_16F8>:
	s_lshr_b32 s60, s71, 8                                     // 000000007DDC: 8F3C8847
	s_and_b32 s60, s60, 1                                      // 000000007DE0: 863C813C
	s_cmp_eq_i32 s60, 1                                        // 000000007DE4: BF00813C
	s_cbranch_scc1 label_18CD                                  // 000000007DE8: BF8501D1
	s_waitcnt vmcnt(16) lgkmcnt(0)                             // 000000007DEC: BF8C4070
	s_barrier                                                  // 000000007DF0: BF8A0000
	v_mfma_f32_16x16x16_f16 v[112:115], a[0:1], v[80:81], 0    // 000000007DF4: D3CD0070 0A02A100
	v_mfma_f32_16x16x16_f16 v[112:115], a[2:3], v[82:83], v[112:115]// 000000007DFC: D3CD0070 0DC2A502
	v_mfma_f32_16x16x16_f16 v[112:115], a[4:5], v[84:85], v[112:115]// 000000007E04: D3CD0070 0DC2A904
	v_mfma_f32_16x16x16_f16 v[112:115], a[6:7], v[86:87], v[112:115]// 000000007E0C: D3CD0070 0DC2AD06
	v_mfma_f32_16x16x16_f16 v[112:115], a[8:9], v[88:89], v[112:115]// 000000007E14: D3CD0070 0DC2B108
	v_mfma_f32_16x16x16_f16 v[112:115], a[10:11], v[90:91], v[112:115]// 000000007E1C: D3CD0070 0DC2B50A
	v_mfma_f32_16x16x16_f16 v[112:115], a[12:13], v[92:93], v[112:115]// 000000007E24: D3CD0070 0DC2B90C
	v_mfma_f32_16x16x16_f16 v[112:115], a[14:15], v[94:95], v[112:115]// 000000007E2C: D3CD0070 0DC2BD0E
	v_mfma_f32_16x16x16_f16 v[116:119], a[16:17], v[80:81], 0  // 000000007E34: D3CD0074 0A02A110
	v_mfma_f32_16x16x16_f16 v[116:119], a[18:19], v[82:83], v[116:119]// 000000007E3C: D3CD0074 0DD2A512
	v_mfma_f32_16x16x16_f16 v[116:119], a[20:21], v[84:85], v[116:119]// 000000007E44: D3CD0074 0DD2A914
	v_mfma_f32_16x16x16_f16 v[116:119], a[22:23], v[86:87], v[116:119]// 000000007E4C: D3CD0074 0DD2AD16
	v_mfma_f32_16x16x16_f16 v[116:119], a[24:25], v[88:89], v[116:119]// 000000007E54: D3CD0074 0DD2B118
	v_mfma_f32_16x16x16_f16 v[116:119], a[26:27], v[90:91], v[116:119]// 000000007E5C: D3CD0074 0DD2B51A
	v_mfma_f32_16x16x16_f16 v[116:119], a[28:29], v[92:93], v[116:119]// 000000007E64: D3CD0074 0DD2B91C
	v_mfma_f32_16x16x16_f16 v[116:119], a[30:31], v[94:95], v[116:119]// 000000007E6C: D3CD0074 0DD2BD1E
	v_mfma_f32_16x16x16_f16 v[120:123], a[32:33], v[80:81], 0  // 000000007E74: D3CD0078 0A02A120
	v_mfma_f32_16x16x16_f16 v[120:123], a[34:35], v[82:83], v[120:123]// 000000007E7C: D3CD0078 0DE2A522
	v_mfma_f32_16x16x16_f16 v[120:123], a[36:37], v[84:85], v[120:123]// 000000007E84: D3CD0078 0DE2A924
	v_mfma_f32_16x16x16_f16 v[120:123], a[38:39], v[86:87], v[120:123]// 000000007E8C: D3CD0078 0DE2AD26
	v_mfma_f32_16x16x16_f16 v[120:123], a[40:41], v[88:89], v[120:123]// 000000007E94: D3CD0078 0DE2B128
	v_mfma_f32_16x16x16_f16 v[120:123], a[42:43], v[90:91], v[120:123]// 000000007E9C: D3CD0078 0DE2B52A
	v_mfma_f32_16x16x16_f16 v[120:123], a[44:45], v[92:93], v[120:123]// 000000007EA4: D3CD0078 0DE2B92C
	v_mfma_f32_16x16x16_f16 v[120:123], a[46:47], v[94:95], v[120:123]// 000000007EAC: D3CD0078 0DE2BD2E
	v_mfma_f32_16x16x16_f16 v[124:127], a[48:49], v[80:81], 0  // 000000007EB4: D3CD007C 0A02A130
	v_mfma_f32_16x16x16_f16 v[124:127], a[50:51], v[82:83], v[124:127]// 000000007EBC: D3CD007C 0DF2A532
	v_mfma_f32_16x16x16_f16 v[124:127], a[52:53], v[84:85], v[124:127]// 000000007EC4: D3CD007C 0DF2A934
	v_mfma_f32_16x16x16_f16 v[124:127], a[54:55], v[86:87], v[124:127]// 000000007ECC: D3CD007C 0DF2AD36
	v_mfma_f32_16x16x16_f16 v[124:127], a[56:57], v[88:89], v[124:127]// 000000007ED4: D3CD007C 0DF2B138
	v_mfma_f32_16x16x16_f16 v[124:127], a[58:59], v[90:91], v[124:127]// 000000007EDC: D3CD007C 0DF2B53A
	v_mfma_f32_16x16x16_f16 v[124:127], a[60:61], v[92:93], v[124:127]// 000000007EE4: D3CD007C 0DF2B93C
	v_mfma_f32_16x16x16_f16 v[124:127], a[62:63], v[94:95], v[124:127]// 000000007EEC: D3CD007C 0DF2BD3E
	s_nop 8                                                    // 000000007EF4: BF800008
	s_and_b32 s60, s72, 0xff                                   // 000000007EF8: 863CFF48 000000FF
	v_mov_b32_e32 v56, s60                                     // 000000007F00: 7E70023C
	v_lshrrev_b32_e32 v31, 4, v0                               // 000000007F04: 203E0084
	v_mul_i32_i24_e32 v31, 4, v31                              // 000000007F08: 0C3E3E84
	s_mul_i32 s60, s7, 16                                      // 000000007F0C: 923C9007
	v_add_u32_e32 v31, s60, v31                                // 000000007F10: 683E3E3C
	v_add_u32_e32 v32, 1, v31                                  // 000000007F14: 68403E81
	v_add_u32_e32 v33, 2, v31                                  // 000000007F18: 68423E82
	v_add_u32_e32 v34, 3, v31                                  // 000000007F1C: 68443E83
	v_mov_b32_e32 v39, v55                                     // 000000007F20: 7E4E0337
	v_cmp_lt_u32_e64 s[40:41], v31, v56                        // 000000007F24: D0C90028 0002711F
	v_add_u32_e32 v31, 64, v31                                 // 000000007F2C: 683E3EC0
	s_nop 0                                                    // 000000007F30: BF800000
	v_cndmask_b32_e64 v112, v39, v112, s[40:41]                // 000000007F34: D1000070 00A2E127
	v_cmp_lt_u32_e64 s[40:41], v32, v56                        // 000000007F3C: D0C90028 00027120
	v_add_u32_e32 v32, 64, v32                                 // 000000007F44: 684040C0
	s_nop 0                                                    // 000000007F48: BF800000
	v_cndmask_b32_e64 v113, v39, v113, s[40:41]                // 000000007F4C: D1000071 00A2E327
	v_cmp_lt_u32_e64 s[40:41], v33, v56                        // 000000007F54: D0C90028 00027121
	v_add_u32_e32 v33, 64, v33                                 // 000000007F5C: 684242C0
	s_nop 0                                                    // 000000007F60: BF800000
	v_cndmask_b32_e64 v114, v39, v114, s[40:41]                // 000000007F64: D1000072 00A2E527
	v_cmp_lt_u32_e64 s[40:41], v34, v56                        // 000000007F6C: D0C90028 00027122
	v_add_u32_e32 v34, 64, v34                                 // 000000007F74: 684444C0
	s_nop 0                                                    // 000000007F78: BF800000
	v_cndmask_b32_e64 v115, v39, v115, s[40:41]                // 000000007F7C: D1000073 00A2E727
	v_cmp_lt_u32_e64 s[40:41], v31, v56                        // 000000007F84: D0C90028 0002711F
	v_add_u32_e32 v31, 64, v31                                 // 000000007F8C: 683E3EC0
	s_nop 0                                                    // 000000007F90: BF800000
	v_cndmask_b32_e64 v116, v39, v116, s[40:41]                // 000000007F94: D1000074 00A2E927
	v_cmp_lt_u32_e64 s[40:41], v32, v56                        // 000000007F9C: D0C90028 00027120
	v_add_u32_e32 v32, 64, v32                                 // 000000007FA4: 684040C0
	s_nop 0                                                    // 000000007FA8: BF800000
	v_cndmask_b32_e64 v117, v39, v117, s[40:41]                // 000000007FAC: D1000075 00A2EB27
	v_cmp_lt_u32_e64 s[40:41], v33, v56                        // 000000007FB4: D0C90028 00027121
	v_add_u32_e32 v33, 64, v33                                 // 000000007FBC: 684242C0
	s_nop 0                                                    // 000000007FC0: BF800000
	v_cndmask_b32_e64 v118, v39, v118, s[40:41]                // 000000007FC4: D1000076 00A2ED27
	v_cmp_lt_u32_e64 s[40:41], v34, v56                        // 000000007FCC: D0C90028 00027122
	v_add_u32_e32 v34, 64, v34                                 // 000000007FD4: 684444C0
	s_nop 0                                                    // 000000007FD8: BF800000
	v_cndmask_b32_e64 v119, v39, v119, s[40:41]                // 000000007FDC: D1000077 00A2EF27
	v_cmp_lt_u32_e64 s[40:41], v31, v56                        // 000000007FE4: D0C90028 0002711F
	v_add_u32_e32 v31, 64, v31                                 // 000000007FEC: 683E3EC0
	s_nop 0                                                    // 000000007FF0: BF800000
	v_cndmask_b32_e64 v120, v39, v120, s[40:41]                // 000000007FF4: D1000078 00A2F127
	v_cmp_lt_u32_e64 s[40:41], v32, v56                        // 000000007FFC: D0C90028 00027120
	v_add_u32_e32 v32, 64, v32                                 // 000000008004: 684040C0
	s_nop 0                                                    // 000000008008: BF800000
	v_cndmask_b32_e64 v121, v39, v121, s[40:41]                // 00000000800C: D1000079 00A2F327
	v_cmp_lt_u32_e64 s[40:41], v33, v56                        // 000000008014: D0C90028 00027121
	v_add_u32_e32 v33, 64, v33                                 // 00000000801C: 684242C0
	s_nop 0                                                    // 000000008020: BF800000
	v_cndmask_b32_e64 v122, v39, v122, s[40:41]                // 000000008024: D100007A 00A2F527
	v_cmp_lt_u32_e64 s[40:41], v34, v56                        // 00000000802C: D0C90028 00027122
	v_add_u32_e32 v34, 64, v34                                 // 000000008034: 684444C0
	s_nop 0                                                    // 000000008038: BF800000
	v_cndmask_b32_e64 v123, v39, v123, s[40:41]                // 00000000803C: D100007B 00A2F727
	v_cmp_lt_u32_e64 s[40:41], v31, v56                        // 000000008044: D0C90028 0002711F
	v_add_u32_e32 v31, 64, v31                                 // 00000000804C: 683E3EC0
	s_nop 0                                                    // 000000008050: BF800000
	v_cndmask_b32_e64 v124, v39, v124, s[40:41]                // 000000008054: D100007C 00A2F927
	v_cmp_lt_u32_e64 s[40:41], v32, v56                        // 00000000805C: D0C90028 00027120
	v_add_u32_e32 v32, 64, v32                                 // 000000008064: 684040C0
	s_nop 0                                                    // 000000008068: BF800000
	v_cndmask_b32_e64 v125, v39, v125, s[40:41]                // 00000000806C: D100007D 00A2FB27
	v_cmp_lt_u32_e64 s[40:41], v33, v56                        // 000000008074: D0C90028 00027121
	v_add_u32_e32 v33, 64, v33                                 // 00000000807C: 684242C0
	s_nop 0                                                    // 000000008080: BF800000
	v_cndmask_b32_e64 v126, v39, v126, s[40:41]                // 000000008084: D100007E 00A2FD27
	v_cmp_lt_u32_e64 s[40:41], v34, v56                        // 00000000808C: D0C90028 00027122
	v_add_u32_e32 v34, 64, v34                                 // 000000008094: 684444C0
	s_nop 0                                                    // 000000008098: BF800000
	v_cndmask_b32_e64 v127, v39, v127, s[40:41]                // 00000000809C: D100007F 00A2FF27
	s_nop 8                                                    // 0000000080A4: BF800008
	v_mov_b32_e32 v50, v112                                    // 0000000080A8: 7E640370
	v_max3_f32 v50, v112, v113, v50                            // 0000000080AC: D1D30032 04CAE370
	v_max3_f32 v50, v114, v115, v50                            // 0000000080B4: D1D30032 04CAE772
	v_max3_f32 v50, v116, v117, v50                            // 0000000080BC: D1D30032 04CAEB74
	v_max3_f32 v50, v118, v119, v50                            // 0000000080C4: D1D30032 04CAEF76
	v_max3_f32 v50, v120, v121, v50                            // 0000000080CC: D1D30032 04CAF378
	v_max3_f32 v50, v122, v123, v50                            // 0000000080D4: D1D30032 04CAF77A
	v_max3_f32 v50, v124, v125, v50                            // 0000000080DC: D1D30032 04CAFB7C
	v_max3_f32 v50, v126, v127, v50                            // 0000000080E4: D1D30032 04CAFF7E
	ds_write_b32 v11, v50                                      // 0000000080EC: D81A0000 0000320B
	s_waitcnt lgkmcnt(0)                                       // 0000000080F4: BF8CC07F
	s_barrier                                                  // 0000000080F8: BF8A0000
	ds_read_b32 v64, v10                                       // 0000000080FC: D86C0000 4000000A
	ds_read_b32 v65, v10 offset:64                             // 000000008104: D86C0040 4100000A
	ds_read_b32 v66, v10 offset:128                            // 00000000810C: D86C0080 4200000A
	ds_read_b32 v67, v10 offset:192                            // 000000008114: D86C00C0 4300000A
	ds_read_b32 v68, v10 offset:256                            // 00000000811C: D86C0100 4400000A
	ds_read_b32 v69, v10 offset:320                            // 000000008124: D86C0140 4500000A
	ds_read_b32 v70, v10 offset:384                            // 00000000812C: D86C0180 4600000A
	ds_read_b32 v71, v10 offset:448                            // 000000008134: D86C01C0 4700000A
	ds_read_b32 v72, v10 offset:512                            // 00000000813C: D86C0200 4800000A
	ds_read_b32 v73, v10 offset:576                            // 000000008144: D86C0240 4900000A
	ds_read_b32 v74, v10 offset:640                            // 00000000814C: D86C0280 4A00000A
	ds_read_b32 v75, v10 offset:704                            // 000000008154: D86C02C0 4B00000A
	ds_read_b32 v76, v10 offset:768                            // 00000000815C: D86C0300 4C00000A
	ds_read_b32 v77, v10 offset:832                            // 000000008164: D86C0340 4D00000A
	ds_read_b32 v78, v10 offset:896                            // 00000000816C: D86C0380 4E00000A
	ds_read_b32 v79, v10 offset:960                            // 000000008174: D86C03C0 4F00000A
	s_waitcnt lgkmcnt(0)                                       // 00000000817C: BF8CC07F
	v_max3_f32 v50, v64, v65, v50                              // 000000008180: D1D30032 04CA8340
	v_max3_f32 v50, v66, v67, v50                              // 000000008188: D1D30032 04CA8742
	v_max3_f32 v50, v68, v69, v50                              // 000000008190: D1D30032 04CA8B44
	v_max3_f32 v50, v70, v71, v50                              // 000000008198: D1D30032 04CA8F46
	v_max3_f32 v50, v72, v73, v50                              // 0000000081A0: D1D30032 04CA9348
	v_max3_f32 v50, v74, v75, v50                              // 0000000081A8: D1D30032 04CA974A
	v_max3_f32 v50, v76, v77, v50                              // 0000000081B0: D1D30032 04CA9B4C
	v_max3_f32 v50, v78, v79, v50                              // 0000000081B8: D1D30032 04CA9F4E
	v_cmp_eq_u32_e64 s[40:41], v55, v14                        // 0000000081C0: D0CA0028 00021D37
	s_nop 1                                                    // 0000000081C8: BF800001
	v_max_f32_e32 v16, v50, v14                                // 0000000081CC: 16201D32
	v_sub_f32_e32 v51, v14, v16                                // 0000000081D0: 0466210E
	v_cndmask_b32_e64 v51, v51, 0, s[40:41]                    // 0000000081D4: D1000033 00A10133
	v_mov_b32_e32 v14, v16                                     // 0000000081DC: 7E1C0310
	v_mul_f32_e32 v53, s64, v16                                // 0000000081E0: 0A6A2040
	v_mul_f32_e32 v51, s64, v51                                // 0000000081E4: 0A666640
	v_exp_f32_e32 v51, v51                                     // 0000000081E8: 7E664133
	v_fma_f32 v112, v112, s64, -v53                            // 0000000081EC: D1CB0070 84D48170
	v_fma_f32 v113, v113, s64, -v53                            // 0000000081F4: D1CB0071 84D48171
	v_fma_f32 v114, v114, s64, -v53                            // 0000000081FC: D1CB0072 84D48172
	v_fma_f32 v115, v115, s64, -v53                            // 000000008204: D1CB0073 84D48173
	v_fma_f32 v116, v116, s64, -v53                            // 00000000820C: D1CB0074 84D48174
	v_fma_f32 v117, v117, s64, -v53                            // 000000008214: D1CB0075 84D48175
	v_fma_f32 v118, v118, s64, -v53                            // 00000000821C: D1CB0076 84D48176
	v_fma_f32 v119, v119, s64, -v53                            // 000000008224: D1CB0077 84D48177
	v_fma_f32 v120, v120, s64, -v53                            // 00000000822C: D1CB0078 84D48178
	v_fma_f32 v121, v121, s64, -v53                            // 000000008234: D1CB0079 84D48179
	v_fma_f32 v122, v122, s64, -v53                            // 00000000823C: D1CB007A 84D4817A
	v_fma_f32 v123, v123, s64, -v53                            // 000000008244: D1CB007B 84D4817B
	v_fma_f32 v124, v124, s64, -v53                            // 00000000824C: D1CB007C 84D4817C
	v_fma_f32 v125, v125, s64, -v53                            // 000000008254: D1CB007D 84D4817D
	v_fma_f32 v126, v126, s64, -v53                            // 00000000825C: D1CB007E 84D4817E
	v_fma_f32 v127, v127, s64, -v53                            // 000000008264: D1CB007F 84D4817F
	v_exp_f32_e32 v112, v112                                   // 00000000826C: 7EE04170
	v_exp_f32_e32 v113, v113                                   // 000000008270: 7EE24171
	v_exp_f32_e32 v114, v114                                   // 000000008274: 7EE44172
	v_exp_f32_e32 v115, v115                                   // 000000008278: 7EE64173
	v_exp_f32_e32 v116, v116                                   // 00000000827C: 7EE84174
	v_exp_f32_e32 v117, v117                                   // 000000008280: 7EEA4175
	v_exp_f32_e32 v118, v118                                   // 000000008284: 7EEC4176
	v_exp_f32_e32 v119, v119                                   // 000000008288: 7EEE4177
	v_exp_f32_e32 v120, v120                                   // 00000000828C: 7EF04178
	v_exp_f32_e32 v121, v121                                   // 000000008290: 7EF24179
	v_exp_f32_e32 v122, v122                                   // 000000008294: 7EF4417A
	v_exp_f32_e32 v123, v123                                   // 000000008298: 7EF6417B
	v_exp_f32_e32 v124, v124                                   // 00000000829C: 7EF8417C
	v_exp_f32_e32 v125, v125                                   // 0000000082A0: 7EFA417D
	v_exp_f32_e32 v126, v126                                   // 0000000082A4: 7EFC417E
	v_exp_f32_e32 v127, v127                                   // 0000000082A8: 7EFE417F
	v_mul_f32_e32 v43, v51, v43                                // 0000000082AC: 0A565733
	v_mov_b32_e32 v45, v112                                    // 0000000082B0: 7E5A0370
	v_add_f32_e32 v45, v113, v45                               // 0000000082B4: 025A5B71
	v_add_f32_e32 v45, v114, v45                               // 0000000082B8: 025A5B72
	v_add_f32_e32 v45, v115, v45                               // 0000000082BC: 025A5B73
	v_add_f32_e32 v45, v116, v45                               // 0000000082C0: 025A5B74
	v_add_f32_e32 v45, v117, v45                               // 0000000082C4: 025A5B75
	v_add_f32_e32 v45, v118, v45                               // 0000000082C8: 025A5B76
	v_add_f32_e32 v45, v119, v45                               // 0000000082CC: 025A5B77
	v_add_f32_e32 v45, v120, v45                               // 0000000082D0: 025A5B78
	v_add_f32_e32 v45, v121, v45                               // 0000000082D4: 025A5B79
	v_add_f32_e32 v45, v122, v45                               // 0000000082D8: 025A5B7A
	v_add_f32_e32 v45, v123, v45                               // 0000000082DC: 025A5B7B
	v_add_f32_e32 v45, v124, v45                               // 0000000082E0: 025A5B7C
	v_add_f32_e32 v45, v125, v45                               // 0000000082E4: 025A5B7D
	v_add_f32_e32 v45, v126, v45                               // 0000000082E8: 025A5B7E
	v_add_f32_e32 v45, v127, v45                               // 0000000082EC: 025A5B7F
	v_add_f32_e32 v43, v45, v43                                // 0000000082F0: 0256572D
	v_cvt_pkrtz_f16_f32 v39, v112, v113                        // 0000000082F4: D2960027 0002E370
	v_mov_b32_e32 v112, v39                                    // 0000000082FC: 7EE00327
	v_cvt_pkrtz_f16_f32 v39, v114, v115                        // 000000008300: D2960027 0002E772
	v_mov_b32_e32 v113, v39                                    // 000000008308: 7EE20327
	v_cvt_pkrtz_f16_f32 v39, v116, v117                        // 00000000830C: D2960027 0002EB74
	v_mov_b32_e32 v114, v39                                    // 000000008314: 7EE40327
	v_cvt_pkrtz_f16_f32 v39, v118, v119                        // 000000008318: D2960027 0002EF76
	v_mov_b32_e32 v115, v39                                    // 000000008320: 7EE60327
	v_cvt_pkrtz_f16_f32 v39, v120, v121                        // 000000008324: D2960027 0002F378
	v_mov_b32_e32 v116, v39                                    // 00000000832C: 7EE80327
	v_cvt_pkrtz_f16_f32 v39, v122, v123                        // 000000008330: D2960027 0002F77A
	v_mov_b32_e32 v117, v39                                    // 000000008338: 7EEA0327
	v_cvt_pkrtz_f16_f32 v39, v124, v125                        // 00000000833C: D2960027 0002FB7C
	v_mov_b32_e32 v118, v39                                    // 000000008344: 7EEC0327
	v_cvt_pkrtz_f16_f32 v39, v126, v127                        // 000000008348: D2960027 0002FF7E
	v_mov_b32_e32 v119, v39                                    // 000000008350: 7EEE0327
	ds_write_b64 v13, v[112:113] offset:4096                   // 000000008354: D89A1000 0000700D
	ds_write_b64 v13, v[114:115] offset:6144                   // 00000000835C: D89A1800 0000720D
	ds_write_b64 v13, v[116:117] offset:8192                   // 000000008364: D89A2000 0000740D
	ds_write_b64 v13, v[118:119] offset:10240                  // 00000000836C: D89A2800 0000760D
	s_waitcnt lgkmcnt(0)                                       // 000000008374: BF8CC07F
	s_barrier                                                  // 000000008378: BF8A0000
	ds_read_b64 v[112:113], v12 offset:4096                    // 00000000837C: D8EC1000 7000000C
	ds_read_b64 v[114:115], v12 offset:4224                    // 000000008384: D8EC1080 7200000C
	ds_read_b64 v[116:117], v12 offset:5120                    // 00000000838C: D8EC1400 7400000C
	ds_read_b64 v[118:119], v12 offset:5248                    // 000000008394: D8EC1480 7600000C
	ds_read_b64 v[120:121], v12 offset:6144                    // 00000000839C: D8EC1800 7800000C
	ds_read_b64 v[122:123], v12 offset:6272                    // 0000000083A4: D8EC1880 7A00000C
	ds_read_b64 v[124:125], v12 offset:7168                    // 0000000083AC: D8EC1C00 7C00000C
	ds_read_b64 v[126:127], v12 offset:7296                    // 0000000083B4: D8EC1C80 7E00000C
	ds_read_b64 v[128:129], v12 offset:8192                    // 0000000083BC: D8EC2000 8000000C
	ds_read_b64 v[130:131], v12 offset:8320                    // 0000000083C4: D8EC2080 8200000C
	ds_read_b64 v[132:133], v12 offset:9216                    // 0000000083CC: D8EC2400 8400000C
	ds_read_b64 v[134:135], v12 offset:9344                    // 0000000083D4: D8EC2480 8600000C
	ds_read_b64 v[136:137], v12 offset:10240                   // 0000000083DC: D8EC2800 8800000C
	ds_read_b64 v[138:139], v12 offset:10368                   // 0000000083E4: D8EC2880 8A00000C
	ds_read_b64 v[140:141], v12 offset:11264                   // 0000000083EC: D8EC2C00 8C00000C
	ds_read_b64 v[142:143], v12 offset:11392                   // 0000000083F4: D8EC2C80 8E00000C
	s_waitcnt lgkmcnt(0)                                       // 0000000083FC: BF8CC07F
	v_mul_f32_e32 v176, v51, v176                              // 000000008400: 0B616133
	v_mul_f32_e32 v177, v51, v177                              // 000000008404: 0B636333
	v_mul_f32_e32 v178, v51, v178                              // 000000008408: 0B656533
	v_mul_f32_e32 v179, v51, v179                              // 00000000840C: 0B676733
	v_mul_f32_e32 v180, v51, v180                              // 000000008410: 0B696933
	v_mul_f32_e32 v181, v51, v181                              // 000000008414: 0B6B6B33
	v_mul_f32_e32 v182, v51, v182                              // 000000008418: 0B6D6D33
	v_mul_f32_e32 v183, v51, v183                              // 00000000841C: 0B6F6F33
	s_waitcnt vmcnt(0)                                         // 000000008420: BF8C0F70
	s_barrier                                                  // 000000008424: BF8A0000
	v_mfma_f32_16x16x16_f16 v[176:179], a[128:129], v[112:113], v[176:179]// 000000008428: D3CD00B0 0EC2E180
	v_mfma_f32_16x16x16_f16 v[176:179], a[130:131], v[114:115], v[176:179]// 000000008430: D3CD00B0 0EC2E582
	v_mfma_f32_16x16x16_f16 v[176:179], a[132:133], v[116:117], v[176:179]// 000000008438: D3CD00B0 0EC2E984
	v_mfma_f32_16x16x16_f16 v[176:179], a[134:135], v[118:119], v[176:179]// 000000008440: D3CD00B0 0EC2ED86
	v_mfma_f32_16x16x16_f16 v[176:179], a[136:137], v[120:121], v[176:179]// 000000008448: D3CD00B0 0EC2F188
	v_mfma_f32_16x16x16_f16 v[176:179], a[138:139], v[122:123], v[176:179]// 000000008450: D3CD00B0 0EC2F58A
	v_mfma_f32_16x16x16_f16 v[176:179], a[140:141], v[124:125], v[176:179]// 000000008458: D3CD00B0 0EC2F98C
	v_mfma_f32_16x16x16_f16 v[176:179], a[142:143], v[126:127], v[176:179]// 000000008460: D3CD00B0 0EC2FD8E
	v_mfma_f32_16x16x16_f16 v[176:179], a[144:145], v[128:129], v[176:179]// 000000008468: D3CD00B0 0EC30190
	v_mfma_f32_16x16x16_f16 v[176:179], a[146:147], v[130:131], v[176:179]// 000000008470: D3CD00B0 0EC30592
	v_mfma_f32_16x16x16_f16 v[176:179], a[148:149], v[132:133], v[176:179]// 000000008478: D3CD00B0 0EC30994
	v_mfma_f32_16x16x16_f16 v[176:179], a[150:151], v[134:135], v[176:179]// 000000008480: D3CD00B0 0EC30D96
	v_mfma_f32_16x16x16_f16 v[176:179], a[152:153], v[136:137], v[176:179]// 000000008488: D3CD00B0 0EC31198
	v_mfma_f32_16x16x16_f16 v[176:179], a[154:155], v[138:139], v[176:179]// 000000008490: D3CD00B0 0EC3159A
	v_mfma_f32_16x16x16_f16 v[176:179], a[156:157], v[140:141], v[176:179]// 000000008498: D3CD00B0 0EC3199C
	v_mfma_f32_16x16x16_f16 v[176:179], a[158:159], v[142:143], v[176:179]// 0000000084A0: D3CD00B0 0EC31D9E
	v_mfma_f32_16x16x16_f16 v[180:183], a[160:161], v[112:113], v[180:183]// 0000000084A8: D3CD00B4 0ED2E1A0
	v_mfma_f32_16x16x16_f16 v[180:183], a[162:163], v[114:115], v[180:183]// 0000000084B0: D3CD00B4 0ED2E5A2
	v_mfma_f32_16x16x16_f16 v[180:183], a[164:165], v[116:117], v[180:183]// 0000000084B8: D3CD00B4 0ED2E9A4
	v_mfma_f32_16x16x16_f16 v[180:183], a[166:167], v[118:119], v[180:183]// 0000000084C0: D3CD00B4 0ED2EDA6
	v_mfma_f32_16x16x16_f16 v[180:183], a[168:169], v[120:121], v[180:183]// 0000000084C8: D3CD00B4 0ED2F1A8
	v_mfma_f32_16x16x16_f16 v[180:183], a[170:171], v[122:123], v[180:183]// 0000000084D0: D3CD00B4 0ED2F5AA
	v_mfma_f32_16x16x16_f16 v[180:183], a[172:173], v[124:125], v[180:183]// 0000000084D8: D3CD00B4 0ED2F9AC
	v_mfma_f32_16x16x16_f16 v[180:183], a[174:175], v[126:127], v[180:183]// 0000000084E0: D3CD00B4 0ED2FDAE
	v_mfma_f32_16x16x16_f16 v[180:183], a[176:177], v[128:129], v[180:183]// 0000000084E8: D3CD00B4 0ED301B0
	v_mfma_f32_16x16x16_f16 v[180:183], a[178:179], v[130:131], v[180:183]// 0000000084F0: D3CD00B4 0ED305B2
	v_mfma_f32_16x16x16_f16 v[180:183], a[180:181], v[132:133], v[180:183]// 0000000084F8: D3CD00B4 0ED309B4
	v_mfma_f32_16x16x16_f16 v[180:183], a[182:183], v[134:135], v[180:183]// 000000008500: D3CD00B4 0ED30DB6
	v_mfma_f32_16x16x16_f16 v[180:183], a[184:185], v[136:137], v[180:183]// 000000008508: D3CD00B4 0ED311B8
	v_mfma_f32_16x16x16_f16 v[180:183], a[186:187], v[138:139], v[180:183]// 000000008510: D3CD00B4 0ED315BA
	v_mfma_f32_16x16x16_f16 v[180:183], a[188:189], v[140:141], v[180:183]// 000000008518: D3CD00B4 0ED319BC
	v_mfma_f32_16x16x16_f16 v[180:183], a[190:191], v[142:143], v[180:183]// 000000008520: D3CD00B4 0ED31DBE
	s_nop 8                                                    // 000000008528: BF800008
	s_branch label_1A9E                                        // 00000000852C: BF8201D1

0000000000008530 <label_18CD>:
	s_waitcnt vmcnt(16) lgkmcnt(0)                             // 000000008530: BF8C4070
	s_barrier                                                  // 000000008534: BF8A0000
	v_mfma_f32_16x16x16_f16 v[112:115], a[64:65], v[80:81], 0  // 000000008538: D3CD0070 0A02A140
	v_mfma_f32_16x16x16_f16 v[112:115], a[66:67], v[82:83], v[112:115]// 000000008540: D3CD0070 0DC2A542
	v_mfma_f32_16x16x16_f16 v[112:115], a[68:69], v[84:85], v[112:115]// 000000008548: D3CD0070 0DC2A944
	v_mfma_f32_16x16x16_f16 v[112:115], a[70:71], v[86:87], v[112:115]// 000000008550: D3CD0070 0DC2AD46
	v_mfma_f32_16x16x16_f16 v[112:115], a[72:73], v[88:89], v[112:115]// 000000008558: D3CD0070 0DC2B148
	v_mfma_f32_16x16x16_f16 v[112:115], a[74:75], v[90:91], v[112:115]// 000000008560: D3CD0070 0DC2B54A
	v_mfma_f32_16x16x16_f16 v[112:115], a[76:77], v[92:93], v[112:115]// 000000008568: D3CD0070 0DC2B94C
	v_mfma_f32_16x16x16_f16 v[112:115], a[78:79], v[94:95], v[112:115]// 000000008570: D3CD0070 0DC2BD4E
	v_mfma_f32_16x16x16_f16 v[116:119], a[80:81], v[80:81], 0  // 000000008578: D3CD0074 0A02A150
	v_mfma_f32_16x16x16_f16 v[116:119], a[82:83], v[82:83], v[116:119]// 000000008580: D3CD0074 0DD2A552
	v_mfma_f32_16x16x16_f16 v[116:119], a[84:85], v[84:85], v[116:119]// 000000008588: D3CD0074 0DD2A954
	v_mfma_f32_16x16x16_f16 v[116:119], a[86:87], v[86:87], v[116:119]// 000000008590: D3CD0074 0DD2AD56
	v_mfma_f32_16x16x16_f16 v[116:119], a[88:89], v[88:89], v[116:119]// 000000008598: D3CD0074 0DD2B158
	v_mfma_f32_16x16x16_f16 v[116:119], a[90:91], v[90:91], v[116:119]// 0000000085A0: D3CD0074 0DD2B55A
	v_mfma_f32_16x16x16_f16 v[116:119], a[92:93], v[92:93], v[116:119]// 0000000085A8: D3CD0074 0DD2B95C
	v_mfma_f32_16x16x16_f16 v[116:119], a[94:95], v[94:95], v[116:119]// 0000000085B0: D3CD0074 0DD2BD5E
	v_mfma_f32_16x16x16_f16 v[120:123], a[96:97], v[80:81], 0  // 0000000085B8: D3CD0078 0A02A160
	v_mfma_f32_16x16x16_f16 v[120:123], a[98:99], v[82:83], v[120:123]// 0000000085C0: D3CD0078 0DE2A562
	v_mfma_f32_16x16x16_f16 v[120:123], a[100:101], v[84:85], v[120:123]// 0000000085C8: D3CD0078 0DE2A964
	v_mfma_f32_16x16x16_f16 v[120:123], a[102:103], v[86:87], v[120:123]// 0000000085D0: D3CD0078 0DE2AD66
	v_mfma_f32_16x16x16_f16 v[120:123], a[104:105], v[88:89], v[120:123]// 0000000085D8: D3CD0078 0DE2B168
	v_mfma_f32_16x16x16_f16 v[120:123], a[106:107], v[90:91], v[120:123]// 0000000085E0: D3CD0078 0DE2B56A
	v_mfma_f32_16x16x16_f16 v[120:123], a[108:109], v[92:93], v[120:123]// 0000000085E8: D3CD0078 0DE2B96C
	v_mfma_f32_16x16x16_f16 v[120:123], a[110:111], v[94:95], v[120:123]// 0000000085F0: D3CD0078 0DE2BD6E
	v_mfma_f32_16x16x16_f16 v[124:127], a[112:113], v[80:81], 0// 0000000085F8: D3CD007C 0A02A170
	v_mfma_f32_16x16x16_f16 v[124:127], a[114:115], v[82:83], v[124:127]// 000000008600: D3CD007C 0DF2A572
	v_mfma_f32_16x16x16_f16 v[124:127], a[116:117], v[84:85], v[124:127]// 000000008608: D3CD007C 0DF2A974
	v_mfma_f32_16x16x16_f16 v[124:127], a[118:119], v[86:87], v[124:127]// 000000008610: D3CD007C 0DF2AD76
	v_mfma_f32_16x16x16_f16 v[124:127], a[120:121], v[88:89], v[124:127]// 000000008618: D3CD007C 0DF2B178
	v_mfma_f32_16x16x16_f16 v[124:127], a[122:123], v[90:91], v[124:127]// 000000008620: D3CD007C 0DF2B57A
	v_mfma_f32_16x16x16_f16 v[124:127], a[124:125], v[92:93], v[124:127]// 000000008628: D3CD007C 0DF2B97C
	v_mfma_f32_16x16x16_f16 v[124:127], a[126:127], v[94:95], v[124:127]// 000000008630: D3CD007C 0DF2BD7E
	s_nop 8                                                    // 000000008638: BF800008
	s_and_b32 s60, s72, 0xff                                   // 00000000863C: 863CFF48 000000FF
	v_mov_b32_e32 v56, s60                                     // 000000008644: 7E70023C
	v_lshrrev_b32_e32 v31, 4, v0                               // 000000008648: 203E0084
	v_mul_i32_i24_e32 v31, 4, v31                              // 00000000864C: 0C3E3E84
	s_mul_i32 s60, s7, 16                                      // 000000008650: 923C9007
	v_add_u32_e32 v31, s60, v31                                // 000000008654: 683E3E3C
	v_add_u32_e32 v32, 1, v31                                  // 000000008658: 68403E81
	v_add_u32_e32 v33, 2, v31                                  // 00000000865C: 68423E82
	v_add_u32_e32 v34, 3, v31                                  // 000000008660: 68443E83
	v_mov_b32_e32 v39, v55                                     // 000000008664: 7E4E0337
	v_cmp_lt_u32_e64 s[40:41], v31, v56                        // 000000008668: D0C90028 0002711F
	v_add_u32_e32 v31, 64, v31                                 // 000000008670: 683E3EC0
	s_nop 0                                                    // 000000008674: BF800000
	v_cndmask_b32_e64 v112, v39, v112, s[40:41]                // 000000008678: D1000070 00A2E127
	v_cmp_lt_u32_e64 s[40:41], v32, v56                        // 000000008680: D0C90028 00027120
	v_add_u32_e32 v32, 64, v32                                 // 000000008688: 684040C0
	s_nop 0                                                    // 00000000868C: BF800000
	v_cndmask_b32_e64 v113, v39, v113, s[40:41]                // 000000008690: D1000071 00A2E327
	v_cmp_lt_u32_e64 s[40:41], v33, v56                        // 000000008698: D0C90028 00027121
	v_add_u32_e32 v33, 64, v33                                 // 0000000086A0: 684242C0
	s_nop 0                                                    // 0000000086A4: BF800000
	v_cndmask_b32_e64 v114, v39, v114, s[40:41]                // 0000000086A8: D1000072 00A2E527
	v_cmp_lt_u32_e64 s[40:41], v34, v56                        // 0000000086B0: D0C90028 00027122
	v_add_u32_e32 v34, 64, v34                                 // 0000000086B8: 684444C0
	s_nop 0                                                    // 0000000086BC: BF800000
	v_cndmask_b32_e64 v115, v39, v115, s[40:41]                // 0000000086C0: D1000073 00A2E727
	v_cmp_lt_u32_e64 s[40:41], v31, v56                        // 0000000086C8: D0C90028 0002711F
	v_add_u32_e32 v31, 64, v31                                 // 0000000086D0: 683E3EC0
	s_nop 0                                                    // 0000000086D4: BF800000
	v_cndmask_b32_e64 v116, v39, v116, s[40:41]                // 0000000086D8: D1000074 00A2E927
	v_cmp_lt_u32_e64 s[40:41], v32, v56                        // 0000000086E0: D0C90028 00027120
	v_add_u32_e32 v32, 64, v32                                 // 0000000086E8: 684040C0
	s_nop 0                                                    // 0000000086EC: BF800000
	v_cndmask_b32_e64 v117, v39, v117, s[40:41]                // 0000000086F0: D1000075 00A2EB27
	v_cmp_lt_u32_e64 s[40:41], v33, v56                        // 0000000086F8: D0C90028 00027121
	v_add_u32_e32 v33, 64, v33                                 // 000000008700: 684242C0
	s_nop 0                                                    // 000000008704: BF800000
	v_cndmask_b32_e64 v118, v39, v118, s[40:41]                // 000000008708: D1000076 00A2ED27
	v_cmp_lt_u32_e64 s[40:41], v34, v56                        // 000000008710: D0C90028 00027122
	v_add_u32_e32 v34, 64, v34                                 // 000000008718: 684444C0
	s_nop 0                                                    // 00000000871C: BF800000
	v_cndmask_b32_e64 v119, v39, v119, s[40:41]                // 000000008720: D1000077 00A2EF27
	v_cmp_lt_u32_e64 s[40:41], v31, v56                        // 000000008728: D0C90028 0002711F
	v_add_u32_e32 v31, 64, v31                                 // 000000008730: 683E3EC0
	s_nop 0                                                    // 000000008734: BF800000
	v_cndmask_b32_e64 v120, v39, v120, s[40:41]                // 000000008738: D1000078 00A2F127
	v_cmp_lt_u32_e64 s[40:41], v32, v56                        // 000000008740: D0C90028 00027120
	v_add_u32_e32 v32, 64, v32                                 // 000000008748: 684040C0
	s_nop 0                                                    // 00000000874C: BF800000
	v_cndmask_b32_e64 v121, v39, v121, s[40:41]                // 000000008750: D1000079 00A2F327
	v_cmp_lt_u32_e64 s[40:41], v33, v56                        // 000000008758: D0C90028 00027121
	v_add_u32_e32 v33, 64, v33                                 // 000000008760: 684242C0
	s_nop 0                                                    // 000000008764: BF800000
	v_cndmask_b32_e64 v122, v39, v122, s[40:41]                // 000000008768: D100007A 00A2F527
	v_cmp_lt_u32_e64 s[40:41], v34, v56                        // 000000008770: D0C90028 00027122
	v_add_u32_e32 v34, 64, v34                                 // 000000008778: 684444C0
	s_nop 0                                                    // 00000000877C: BF800000
	v_cndmask_b32_e64 v123, v39, v123, s[40:41]                // 000000008780: D100007B 00A2F727
	v_cmp_lt_u32_e64 s[40:41], v31, v56                        // 000000008788: D0C90028 0002711F
	v_add_u32_e32 v31, 64, v31                                 // 000000008790: 683E3EC0
	s_nop 0                                                    // 000000008794: BF800000
	v_cndmask_b32_e64 v124, v39, v124, s[40:41]                // 000000008798: D100007C 00A2F927
	v_cmp_lt_u32_e64 s[40:41], v32, v56                        // 0000000087A0: D0C90028 00027120
	v_add_u32_e32 v32, 64, v32                                 // 0000000087A8: 684040C0
	s_nop 0                                                    // 0000000087AC: BF800000
	v_cndmask_b32_e64 v125, v39, v125, s[40:41]                // 0000000087B0: D100007D 00A2FB27
	v_cmp_lt_u32_e64 s[40:41], v33, v56                        // 0000000087B8: D0C90028 00027121
	v_add_u32_e32 v33, 64, v33                                 // 0000000087C0: 684242C0
	s_nop 0                                                    // 0000000087C4: BF800000
	v_cndmask_b32_e64 v126, v39, v126, s[40:41]                // 0000000087C8: D100007E 00A2FD27
	v_cmp_lt_u32_e64 s[40:41], v34, v56                        // 0000000087D0: D0C90028 00027122
	v_add_u32_e32 v34, 64, v34                                 // 0000000087D8: 684444C0
	s_nop 0                                                    // 0000000087DC: BF800000
	v_cndmask_b32_e64 v127, v39, v127, s[40:41]                // 0000000087E0: D100007F 00A2FF27
	s_nop 8                                                    // 0000000087E8: BF800008
	v_mov_b32_e32 v50, v112                                    // 0000000087EC: 7E640370
	v_max3_f32 v50, v112, v113, v50                            // 0000000087F0: D1D30032 04CAE370
	v_max3_f32 v50, v114, v115, v50                            // 0000000087F8: D1D30032 04CAE772
	v_max3_f32 v50, v116, v117, v50                            // 000000008800: D1D30032 04CAEB74
	v_max3_f32 v50, v118, v119, v50                            // 000000008808: D1D30032 04CAEF76
	v_max3_f32 v50, v120, v121, v50                            // 000000008810: D1D30032 04CAF378
	v_max3_f32 v50, v122, v123, v50                            // 000000008818: D1D30032 04CAF77A
	v_max3_f32 v50, v124, v125, v50                            // 000000008820: D1D30032 04CAFB7C
	v_max3_f32 v50, v126, v127, v50                            // 000000008828: D1D30032 04CAFF7E
	ds_write_b32 v11, v50                                      // 000000008830: D81A0000 0000320B
	s_waitcnt lgkmcnt(0)                                       // 000000008838: BF8CC07F
	s_barrier                                                  // 00000000883C: BF8A0000
	ds_read_b32 v64, v10                                       // 000000008840: D86C0000 4000000A
	ds_read_b32 v65, v10 offset:64                             // 000000008848: D86C0040 4100000A
	ds_read_b32 v66, v10 offset:128                            // 000000008850: D86C0080 4200000A
	ds_read_b32 v67, v10 offset:192                            // 000000008858: D86C00C0 4300000A
	ds_read_b32 v68, v10 offset:256                            // 000000008860: D86C0100 4400000A
	ds_read_b32 v69, v10 offset:320                            // 000000008868: D86C0140 4500000A
	ds_read_b32 v70, v10 offset:384                            // 000000008870: D86C0180 4600000A
	ds_read_b32 v71, v10 offset:448                            // 000000008878: D86C01C0 4700000A
	ds_read_b32 v72, v10 offset:512                            // 000000008880: D86C0200 4800000A
	ds_read_b32 v73, v10 offset:576                            // 000000008888: D86C0240 4900000A
	ds_read_b32 v74, v10 offset:640                            // 000000008890: D86C0280 4A00000A
	ds_read_b32 v75, v10 offset:704                            // 000000008898: D86C02C0 4B00000A
	ds_read_b32 v76, v10 offset:768                            // 0000000088A0: D86C0300 4C00000A
	ds_read_b32 v77, v10 offset:832                            // 0000000088A8: D86C0340 4D00000A
	ds_read_b32 v78, v10 offset:896                            // 0000000088B0: D86C0380 4E00000A
	ds_read_b32 v79, v10 offset:960                            // 0000000088B8: D86C03C0 4F00000A
	s_waitcnt lgkmcnt(0)                                       // 0000000088C0: BF8CC07F
	v_max3_f32 v50, v64, v65, v50                              // 0000000088C4: D1D30032 04CA8340
	v_max3_f32 v50, v66, v67, v50                              // 0000000088CC: D1D30032 04CA8742
	v_max3_f32 v50, v68, v69, v50                              // 0000000088D4: D1D30032 04CA8B44
	v_max3_f32 v50, v70, v71, v50                              // 0000000088DC: D1D30032 04CA8F46
	v_max3_f32 v50, v72, v73, v50                              // 0000000088E4: D1D30032 04CA9348
	v_max3_f32 v50, v74, v75, v50                              // 0000000088EC: D1D30032 04CA974A
	v_max3_f32 v50, v76, v77, v50                              // 0000000088F4: D1D30032 04CA9B4C
	v_max3_f32 v50, v78, v79, v50                              // 0000000088FC: D1D30032 04CA9F4E
	v_cmp_eq_u32_e64 s[40:41], v55, v14                        // 000000008904: D0CA0028 00021D37
	s_nop 1                                                    // 00000000890C: BF800001
	v_max_f32_e32 v16, v50, v14                                // 000000008910: 16201D32
	v_sub_f32_e32 v51, v14, v16                                // 000000008914: 0466210E
	v_cndmask_b32_e64 v51, v51, 0, s[40:41]                    // 000000008918: D1000033 00A10133
	v_mov_b32_e32 v14, v16                                     // 000000008920: 7E1C0310
	v_mul_f32_e32 v53, s64, v16                                // 000000008924: 0A6A2040
	v_mul_f32_e32 v51, s64, v51                                // 000000008928: 0A666640
	v_exp_f32_e32 v51, v51                                     // 00000000892C: 7E664133
	v_fma_f32 v112, v112, s64, -v53                            // 000000008930: D1CB0070 84D48170
	v_fma_f32 v113, v113, s64, -v53                            // 000000008938: D1CB0071 84D48171
	v_fma_f32 v114, v114, s64, -v53                            // 000000008940: D1CB0072 84D48172
	v_fma_f32 v115, v115, s64, -v53                            // 000000008948: D1CB0073 84D48173
	v_fma_f32 v116, v116, s64, -v53                            // 000000008950: D1CB0074 84D48174
	v_fma_f32 v117, v117, s64, -v53                            // 000000008958: D1CB0075 84D48175
	v_fma_f32 v118, v118, s64, -v53                            // 000000008960: D1CB0076 84D48176
	v_fma_f32 v119, v119, s64, -v53                            // 000000008968: D1CB0077 84D48177
	v_fma_f32 v120, v120, s64, -v53                            // 000000008970: D1CB0078 84D48178
	v_fma_f32 v121, v121, s64, -v53                            // 000000008978: D1CB0079 84D48179
	v_fma_f32 v122, v122, s64, -v53                            // 000000008980: D1CB007A 84D4817A
	v_fma_f32 v123, v123, s64, -v53                            // 000000008988: D1CB007B 84D4817B
	v_fma_f32 v124, v124, s64, -v53                            // 000000008990: D1CB007C 84D4817C
	v_fma_f32 v125, v125, s64, -v53                            // 000000008998: D1CB007D 84D4817D
	v_fma_f32 v126, v126, s64, -v53                            // 0000000089A0: D1CB007E 84D4817E
	v_fma_f32 v127, v127, s64, -v53                            // 0000000089A8: D1CB007F 84D4817F
	v_exp_f32_e32 v112, v112                                   // 0000000089B0: 7EE04170
	v_exp_f32_e32 v113, v113                                   // 0000000089B4: 7EE24171
	v_exp_f32_e32 v114, v114                                   // 0000000089B8: 7EE44172
	v_exp_f32_e32 v115, v115                                   // 0000000089BC: 7EE64173
	v_exp_f32_e32 v116, v116                                   // 0000000089C0: 7EE84174
	v_exp_f32_e32 v117, v117                                   // 0000000089C4: 7EEA4175
	v_exp_f32_e32 v118, v118                                   // 0000000089C8: 7EEC4176
	v_exp_f32_e32 v119, v119                                   // 0000000089CC: 7EEE4177
	v_exp_f32_e32 v120, v120                                   // 0000000089D0: 7EF04178
	v_exp_f32_e32 v121, v121                                   // 0000000089D4: 7EF24179
	v_exp_f32_e32 v122, v122                                   // 0000000089D8: 7EF4417A
	v_exp_f32_e32 v123, v123                                   // 0000000089DC: 7EF6417B
	v_exp_f32_e32 v124, v124                                   // 0000000089E0: 7EF8417C
	v_exp_f32_e32 v125, v125                                   // 0000000089E4: 7EFA417D
	v_exp_f32_e32 v126, v126                                   // 0000000089E8: 7EFC417E
	v_exp_f32_e32 v127, v127                                   // 0000000089EC: 7EFE417F
	v_mul_f32_e32 v43, v51, v43                                // 0000000089F0: 0A565733
	v_mov_b32_e32 v45, v112                                    // 0000000089F4: 7E5A0370
	v_add_f32_e32 v45, v113, v45                               // 0000000089F8: 025A5B71
	v_add_f32_e32 v45, v114, v45                               // 0000000089FC: 025A5B72
	v_add_f32_e32 v45, v115, v45                               // 000000008A00: 025A5B73
	v_add_f32_e32 v45, v116, v45                               // 000000008A04: 025A5B74
	v_add_f32_e32 v45, v117, v45                               // 000000008A08: 025A5B75
	v_add_f32_e32 v45, v118, v45                               // 000000008A0C: 025A5B76
	v_add_f32_e32 v45, v119, v45                               // 000000008A10: 025A5B77
	v_add_f32_e32 v45, v120, v45                               // 000000008A14: 025A5B78
	v_add_f32_e32 v45, v121, v45                               // 000000008A18: 025A5B79
	v_add_f32_e32 v45, v122, v45                               // 000000008A1C: 025A5B7A
	v_add_f32_e32 v45, v123, v45                               // 000000008A20: 025A5B7B
	v_add_f32_e32 v45, v124, v45                               // 000000008A24: 025A5B7C
	v_add_f32_e32 v45, v125, v45                               // 000000008A28: 025A5B7D
	v_add_f32_e32 v45, v126, v45                               // 000000008A2C: 025A5B7E
	v_add_f32_e32 v45, v127, v45                               // 000000008A30: 025A5B7F
	v_add_f32_e32 v43, v45, v43                                // 000000008A34: 0256572D
	v_cvt_pkrtz_f16_f32 v39, v112, v113                        // 000000008A38: D2960027 0002E370
	v_mov_b32_e32 v112, v39                                    // 000000008A40: 7EE00327
	v_cvt_pkrtz_f16_f32 v39, v114, v115                        // 000000008A44: D2960027 0002E772
	v_mov_b32_e32 v113, v39                                    // 000000008A4C: 7EE20327
	v_cvt_pkrtz_f16_f32 v39, v116, v117                        // 000000008A50: D2960027 0002EB74
	v_mov_b32_e32 v114, v39                                    // 000000008A58: 7EE40327
	v_cvt_pkrtz_f16_f32 v39, v118, v119                        // 000000008A5C: D2960027 0002EF76
	v_mov_b32_e32 v115, v39                                    // 000000008A64: 7EE60327
	v_cvt_pkrtz_f16_f32 v39, v120, v121                        // 000000008A68: D2960027 0002F378
	v_mov_b32_e32 v116, v39                                    // 000000008A70: 7EE80327
	v_cvt_pkrtz_f16_f32 v39, v122, v123                        // 000000008A74: D2960027 0002F77A
	v_mov_b32_e32 v117, v39                                    // 000000008A7C: 7EEA0327
	v_cvt_pkrtz_f16_f32 v39, v124, v125                        // 000000008A80: D2960027 0002FB7C
	v_mov_b32_e32 v118, v39                                    // 000000008A88: 7EEC0327
	v_cvt_pkrtz_f16_f32 v39, v126, v127                        // 000000008A8C: D2960027 0002FF7E
	v_mov_b32_e32 v119, v39                                    // 000000008A94: 7EEE0327
	ds_write_b64 v13, v[112:113] offset:4096                   // 000000008A98: D89A1000 0000700D
	ds_write_b64 v13, v[114:115] offset:6144                   // 000000008AA0: D89A1800 0000720D
	ds_write_b64 v13, v[116:117] offset:8192                   // 000000008AA8: D89A2000 0000740D
	ds_write_b64 v13, v[118:119] offset:10240                  // 000000008AB0: D89A2800 0000760D
	s_waitcnt lgkmcnt(0)                                       // 000000008AB8: BF8CC07F
	s_barrier                                                  // 000000008ABC: BF8A0000
	ds_read_b64 v[112:113], v12 offset:4096                    // 000000008AC0: D8EC1000 7000000C
	ds_read_b64 v[114:115], v12 offset:4224                    // 000000008AC8: D8EC1080 7200000C
	ds_read_b64 v[116:117], v12 offset:5120                    // 000000008AD0: D8EC1400 7400000C
	ds_read_b64 v[118:119], v12 offset:5248                    // 000000008AD8: D8EC1480 7600000C
	ds_read_b64 v[120:121], v12 offset:6144                    // 000000008AE0: D8EC1800 7800000C
	ds_read_b64 v[122:123], v12 offset:6272                    // 000000008AE8: D8EC1880 7A00000C
	ds_read_b64 v[124:125], v12 offset:7168                    // 000000008AF0: D8EC1C00 7C00000C
	ds_read_b64 v[126:127], v12 offset:7296                    // 000000008AF8: D8EC1C80 7E00000C
	ds_read_b64 v[128:129], v12 offset:8192                    // 000000008B00: D8EC2000 8000000C
	ds_read_b64 v[130:131], v12 offset:8320                    // 000000008B08: D8EC2080 8200000C
	ds_read_b64 v[132:133], v12 offset:9216                    // 000000008B10: D8EC2400 8400000C
	ds_read_b64 v[134:135], v12 offset:9344                    // 000000008B18: D8EC2480 8600000C
	ds_read_b64 v[136:137], v12 offset:10240                   // 000000008B20: D8EC2800 8800000C
	ds_read_b64 v[138:139], v12 offset:10368                   // 000000008B28: D8EC2880 8A00000C
	ds_read_b64 v[140:141], v12 offset:11264                   // 000000008B30: D8EC2C00 8C00000C
	ds_read_b64 v[142:143], v12 offset:11392                   // 000000008B38: D8EC2C80 8E00000C
	s_waitcnt lgkmcnt(0)                                       // 000000008B40: BF8CC07F
	v_mul_f32_e32 v176, v51, v176                              // 000000008B44: 0B616133
	v_mul_f32_e32 v177, v51, v177                              // 000000008B48: 0B636333
	v_mul_f32_e32 v178, v51, v178                              // 000000008B4C: 0B656533
	v_mul_f32_e32 v179, v51, v179                              // 000000008B50: 0B676733
	v_mul_f32_e32 v180, v51, v180                              // 000000008B54: 0B696933
	v_mul_f32_e32 v181, v51, v181                              // 000000008B58: 0B6B6B33
	v_mul_f32_e32 v182, v51, v182                              // 000000008B5C: 0B6D6D33
	v_mul_f32_e32 v183, v51, v183                              // 000000008B60: 0B6F6F33
	s_waitcnt vmcnt(0)                                         // 000000008B64: BF8C0F70
	s_barrier                                                  // 000000008B68: BF8A0000
	v_mfma_f32_16x16x16_f16 v[176:179], a[192:193], v[112:113], v[176:179]// 000000008B6C: D3CD00B0 0EC2E1C0
	v_mfma_f32_16x16x16_f16 v[176:179], a[194:195], v[114:115], v[176:179]// 000000008B74: D3CD00B0 0EC2E5C2
	v_mfma_f32_16x16x16_f16 v[176:179], a[196:197], v[116:117], v[176:179]// 000000008B7C: D3CD00B0 0EC2E9C4
	v_mfma_f32_16x16x16_f16 v[176:179], a[198:199], v[118:119], v[176:179]// 000000008B84: D3CD00B0 0EC2EDC6
	v_mfma_f32_16x16x16_f16 v[176:179], a[200:201], v[120:121], v[176:179]// 000000008B8C: D3CD00B0 0EC2F1C8
	v_mfma_f32_16x16x16_f16 v[176:179], a[202:203], v[122:123], v[176:179]// 000000008B94: D3CD00B0 0EC2F5CA
	v_mfma_f32_16x16x16_f16 v[176:179], a[204:205], v[124:125], v[176:179]// 000000008B9C: D3CD00B0 0EC2F9CC
	v_mfma_f32_16x16x16_f16 v[176:179], a[206:207], v[126:127], v[176:179]// 000000008BA4: D3CD00B0 0EC2FDCE
	v_mfma_f32_16x16x16_f16 v[176:179], a[208:209], v[128:129], v[176:179]// 000000008BAC: D3CD00B0 0EC301D0
	v_mfma_f32_16x16x16_f16 v[176:179], a[210:211], v[130:131], v[176:179]// 000000008BB4: D3CD00B0 0EC305D2
	v_mfma_f32_16x16x16_f16 v[176:179], a[212:213], v[132:133], v[176:179]// 000000008BBC: D3CD00B0 0EC309D4
	v_mfma_f32_16x16x16_f16 v[176:179], a[214:215], v[134:135], v[176:179]// 000000008BC4: D3CD00B0 0EC30DD6
	v_mfma_f32_16x16x16_f16 v[176:179], a[216:217], v[136:137], v[176:179]// 000000008BCC: D3CD00B0 0EC311D8
	v_mfma_f32_16x16x16_f16 v[176:179], a[218:219], v[138:139], v[176:179]// 000000008BD4: D3CD00B0 0EC315DA
	v_mfma_f32_16x16x16_f16 v[176:179], a[220:221], v[140:141], v[176:179]// 000000008BDC: D3CD00B0 0EC319DC
	v_mfma_f32_16x16x16_f16 v[176:179], a[222:223], v[142:143], v[176:179]// 000000008BE4: D3CD00B0 0EC31DDE
	v_mfma_f32_16x16x16_f16 v[180:183], a[224:225], v[112:113], v[180:183]// 000000008BEC: D3CD00B4 0ED2E1E0
	v_mfma_f32_16x16x16_f16 v[180:183], a[226:227], v[114:115], v[180:183]// 000000008BF4: D3CD00B4 0ED2E5E2
	v_mfma_f32_16x16x16_f16 v[180:183], a[228:229], v[116:117], v[180:183]// 000000008BFC: D3CD00B4 0ED2E9E4
	v_mfma_f32_16x16x16_f16 v[180:183], a[230:231], v[118:119], v[180:183]// 000000008C04: D3CD00B4 0ED2EDE6
	v_mfma_f32_16x16x16_f16 v[180:183], a[232:233], v[120:121], v[180:183]// 000000008C0C: D3CD00B4 0ED2F1E8
	v_mfma_f32_16x16x16_f16 v[180:183], a[234:235], v[122:123], v[180:183]// 000000008C14: D3CD00B4 0ED2F5EA
	v_mfma_f32_16x16x16_f16 v[180:183], a[236:237], v[124:125], v[180:183]// 000000008C1C: D3CD00B4 0ED2F9EC
	v_mfma_f32_16x16x16_f16 v[180:183], a[238:239], v[126:127], v[180:183]// 000000008C24: D3CD00B4 0ED2FDEE
	v_mfma_f32_16x16x16_f16 v[180:183], a[240:241], v[128:129], v[180:183]// 000000008C2C: D3CD00B4 0ED301F0
	v_mfma_f32_16x16x16_f16 v[180:183], a[242:243], v[130:131], v[180:183]// 000000008C34: D3CD00B4 0ED305F2
	v_mfma_f32_16x16x16_f16 v[180:183], a[244:245], v[132:133], v[180:183]// 000000008C3C: D3CD00B4 0ED309F4
	v_mfma_f32_16x16x16_f16 v[180:183], a[246:247], v[134:135], v[180:183]// 000000008C44: D3CD00B4 0ED30DF6
	v_mfma_f32_16x16x16_f16 v[180:183], a[248:249], v[136:137], v[180:183]// 000000008C4C: D3CD00B4 0ED311F8
	v_mfma_f32_16x16x16_f16 v[180:183], a[250:251], v[138:139], v[180:183]// 000000008C54: D3CD00B4 0ED315FA
	v_mfma_f32_16x16x16_f16 v[180:183], a[252:253], v[140:141], v[180:183]// 000000008C5C: D3CD00B4 0ED319FC
	v_mfma_f32_16x16x16_f16 v[180:183], a[254:255], v[142:143], v[180:183]// 000000008C64: D3CD00B4 0ED31DFE
	s_nop 8                                                    // 000000008C6C: BF800008
	s_branch label_1A9E                                        // 000000008C70: BF820000

0000000000008c74 <label_1A9E>:
	ds_write_b32 v11, v43                                      // 000000008C74: D81A0000 00002B0B
	s_waitcnt lgkmcnt(0)                                       // 000000008C7C: BF8CC07F
	s_barrier                                                  // 000000008C80: BF8A0000
	ds_read_b32 v64, v10                                       // 000000008C84: D86C0000 4000000A
	ds_read_b32 v65, v10 offset:64                             // 000000008C8C: D86C0040 4100000A
	ds_read_b32 v66, v10 offset:128                            // 000000008C94: D86C0080 4200000A
	ds_read_b32 v67, v10 offset:192                            // 000000008C9C: D86C00C0 4300000A
	ds_read_b32 v68, v10 offset:256                            // 000000008CA4: D86C0100 4400000A
	ds_read_b32 v69, v10 offset:320                            // 000000008CAC: D86C0140 4500000A
	ds_read_b32 v70, v10 offset:384                            // 000000008CB4: D86C0180 4600000A
	ds_read_b32 v71, v10 offset:448                            // 000000008CBC: D86C01C0 4700000A
	ds_read_b32 v72, v10 offset:512                            // 000000008CC4: D86C0200 4800000A
	ds_read_b32 v73, v10 offset:576                            // 000000008CCC: D86C0240 4900000A
	ds_read_b32 v74, v10 offset:640                            // 000000008CD4: D86C0280 4A00000A
	ds_read_b32 v75, v10 offset:704                            // 000000008CDC: D86C02C0 4B00000A
	ds_read_b32 v76, v10 offset:768                            // 000000008CE4: D86C0300 4C00000A
	ds_read_b32 v77, v10 offset:832                            // 000000008CEC: D86C0340 4D00000A
	ds_read_b32 v78, v10 offset:896                            // 000000008CF4: D86C0380 4E00000A
	ds_read_b32 v79, v10 offset:960                            // 000000008CFC: D86C03C0 4F00000A
	s_waitcnt lgkmcnt(0)                                       // 000000008D04: BF8CC07F
	v_mov_b32_e32 v43, 0                                       // 000000008D08: 7E560280
	v_add_f32_e32 v43, v64, v43                                // 000000008D0C: 02565740
	v_add_f32_e32 v43, v65, v43                                // 000000008D10: 02565741
	v_add_f32_e32 v43, v66, v43                                // 000000008D14: 02565742
	v_add_f32_e32 v43, v67, v43                                // 000000008D18: 02565743
	v_add_f32_e32 v43, v68, v43                                // 000000008D1C: 02565744
	v_add_f32_e32 v43, v69, v43                                // 000000008D20: 02565745
	v_add_f32_e32 v43, v70, v43                                // 000000008D24: 02565746
	v_add_f32_e32 v43, v71, v43                                // 000000008D28: 02565747
	v_add_f32_e32 v43, v72, v43                                // 000000008D2C: 02565748
	v_add_f32_e32 v43, v73, v43                                // 000000008D30: 02565749
	v_add_f32_e32 v43, v74, v43                                // 000000008D34: 0256574A
	v_add_f32_e32 v43, v75, v43                                // 000000008D38: 0256574B
	v_add_f32_e32 v43, v76, v43                                // 000000008D3C: 0256574C
	v_add_f32_e32 v43, v77, v43                                // 000000008D40: 0256574D
	v_add_f32_e32 v43, v78, v43                                // 000000008D44: 0256574E
	v_add_f32_e32 v43, v79, v43                                // 000000008D48: 0256574F
	s_nop 1                                                    // 000000008D4C: BF800001
	v_rcp_f32_e32 v43, v43                                     // 000000008D50: 7E56452B
	s_nop 1                                                    // 000000008D54: BF800001
	v_mul_f32_e32 v176, v43, v176                              // 000000008D58: 0B61612B
	v_mul_f32_e32 v177, v43, v177                              // 000000008D5C: 0B63632B
	v_mul_f32_e32 v178, v43, v178                              // 000000008D60: 0B65652B
	v_mul_f32_e32 v179, v43, v179                              // 000000008D64: 0B67672B
	v_mul_f32_e32 v180, v43, v180                              // 000000008D68: 0B69692B
	v_mul_f32_e32 v181, v43, v181                              // 000000008D6C: 0B6B6B2B
	v_mul_f32_e32 v182, v43, v182                              // 000000008D70: 0B6D6D2B
	v_mul_f32_e32 v183, v43, v183                              // 000000008D74: 0B6F6F2B
	v_cvt_pkrtz_f16_f32 v39, v176, v177                        // 000000008D78: D2960027 000363B0
	v_mov_b32_e32 v176, v39                                    // 000000008D80: 7F600327
	v_cvt_pkrtz_f16_f32 v39, v178, v179                        // 000000008D84: D2960027 000367B2
	v_mov_b32_e32 v177, v39                                    // 000000008D8C: 7F620327
	v_cvt_pkrtz_f16_f32 v39, v180, v181                        // 000000008D90: D2960027 00036BB4
	v_mov_b32_e32 v178, v39                                    // 000000008D98: 7F640327
	v_cvt_pkrtz_f16_f32 v39, v182, v183                        // 000000008D9C: D2960027 00036FB6
	v_mov_b32_e32 v179, v39                                    // 000000008DA4: 7F660327
	v_lshrrev_b32_e32 v39, 4, v0                               // 000000008DA8: 204E0084
	v_mul_i32_i24_e32 v5, 34, v39                              // 000000008DAC: 0C0A4EA2
	v_and_b32_e32 v39, 15, v0                                  // 000000008DB0: 264E008F
	v_mul_i32_i24_e32 v40, 2, v39                              // 000000008DB4: 0C504E82
	v_add_u32_e32 v5, v40, v5                                  // 000000008DB8: 680A0B28
	s_mul_i32 s60, s7, 0x88                                    // 000000008DBC: 923CFF07 00000088
	v_add_u32_e32 v5, s60, v5                                  // 000000008DC4: 680A0A3C
	v_lshlrev_b32_e32 v5, 2, v5                                // 000000008DC8: 240A0A82
	ds_write_b64 v5, v[176:177] offset:36864                   // 000000008DCC: D89A9000 0000B005
	ds_write_b64 v5, v[178:179] offset:39040                   // 000000008DD4: D89A9880 0000B205
	v_lshrrev_b32_e32 v39, 1, v0                               // 000000008DDC: 204E0081
	v_mul_i32_i24_e32 v5, 34, v39                              // 000000008DE0: 0C0A4EA2
	v_and_b32_e32 v40, 1, v0                                   // 000000008DE4: 26500081
	v_add_u32_e32 v5, v40, v5                                  // 000000008DE8: 680A0B28
	s_mul_i32 s60, s7, 2                                       // 000000008DEC: 923C8207
	v_add_u32_e32 v5, s60, v5                                  // 000000008DF0: 680A0A3C
	v_lshlrev_b32_e32 v5, 2, v5                                // 000000008DF4: 240A0A82
	s_waitcnt lgkmcnt(0)                                       // 000000008DF8: BF8CC07F
	s_barrier                                                  // 000000008DFC: BF8A0000
	ds_read_b32 v176, v5 offset:36864                          // 000000008E00: D86C9000 B0000005
	ds_read_b32 v177, v5 offset:36896                          // 000000008E08: D86C9020 B1000005
	ds_read_b32 v178, v5 offset:36928                          // 000000008E10: D86C9040 B2000005
	ds_read_b32 v179, v5 offset:36960                          // 000000008E18: D86C9060 B3000005
	s_waitcnt lgkmcnt(0)                                       // 000000008E20: BF8CC07F
	buffer_store_dword v176, v8, s[8:11], 0 offen              // 000000008E24: E0701000 8002B008
	buffer_store_dword v177, v8, s[8:11], 0 offen offset:1024  // 000000008E2C: E0701400 8002B108
	s_add_u32 s8, s75, s8                                      // 000000008E34: 8008084B
	s_addc_u32 s9, 0, s9                                       // 000000008E38: 82090980
	buffer_store_dword v178, v8, s[8:11], 0 offen              // 000000008E3C: E0701000 8002B208
	buffer_store_dword v179, v8, s[8:11], 0 offen offset:1024  // 000000008E44: E0701400 8002B308
	s_add_u32 s8, s75, s8                                      // 000000008E4C: 8008084B
	s_addc_u32 s9, 0, s9                                       // 000000008E50: 82090980
	s_branch label_32C2                                        // 000000008E54: BF8217AB

0000000000008e58 <label_1B17>:
	s_mov_b32 s88, 0xa0                                        // 000000008E58: BED800FF 000000A0
	s_mul_i32 s60, s3, s65                                     // 000000008E60: 923C4103
	s_mul_i32 s60, s60, 4                                      // 000000008E64: 923C843C
	s_add_u32 s24, s60, s24                                    // 000000008E68: 8018183C
	s_addc_u32 s25, 0, s25                                     // 000000008E6C: 82191980
	s_mov_b32 s56, 64                                          // 000000008E70: BEB800C0
	s_waitcnt lgkmcnt(0)                                       // 000000008E74: BF8CC07F
	s_add_u32 s73, s72, 15                                     // 000000008E78: 80498F48
	s_lshr_b32 s73, s73, 4                                     // 000000008E7C: 8F498449
	s_mul_i32 s60, s73, 4                                      // 000000008E80: 923C8449
	s_mov_b32 s26, s60                                         // 000000008E84: BE9A003C
	v_and_b32_e32 v40, 3, v0                                   // 000000008E88: 26500083
	v_cmp_eq_u32_e64 s[60:61], 0, v40                          // 000000008E8C: D0CA003C 00025080
	v_and_b32_e32 v39, 12, v0                                  // 000000008E94: 264E008C
	v_add_u32_e32 v1, s7, v39                                  // 000000008E98: 68024E07
	v_cndmask_b32_e64 v1, 0, v1, s[60:61]                      // 000000008E9C: D1000001 00F20280
	v_and_b32_e32 v40, 3, v0                                   // 000000008EA4: 26500083
	v_cmp_eq_u32_e64 s[60:61], 0, v40                          // 000000008EA8: D0CA003C 00025080
	v_lshrrev_b32_e32 v39, 5, v0                               // 000000008EB0: 204E0085
	v_and_b32_e32 v40, 14, v0                                  // 000000008EB4: 2650008E
	v_add_u32_e32 v39, v40, v39                                // 000000008EB8: 684E4F28
	v_cndmask_b32_e64 v39, v39, 0, s[60:61]                    // 000000008EBC: D1000027 00F10127
	v_add_u32_e32 v1, v1, v39                                  // 000000008EC4: 68024F01
	v_lshlrev_b32_e32 v1, 2, v1                                // 000000008EC8: 24020282
	v_writelane_b32 v1, 56, 7                                  // 000000008ECC: D28A0001 00010EB8
	v_writelane_b32 v1, 56, 23                                 // 000000008ED4: D28A0001 00012EB8
	v_writelane_b32 v1, 60, 39                                 // 000000008EDC: D28A0001 00014EBC
	v_writelane_b32 v1, 60, 55                                 // 000000008EE4: D28A0001 00016EBC
	buffer_load_dword v17, v1, s[24:27], 0 offen               // 000000008EEC: E0501000 80061101
	v_add_u32_e32 v1, s56, v1                                  // 000000008EF4: 68020238
	buffer_load_dword v18, v1, s[24:27], 0 offen               // 000000008EF8: E0501000 80061201
	s_cmp_le_u32 s73, 32                                       // 000000008F00: BF0BA049
	s_cselect_b32 s56, 0, s56                                  // 000000008F04: 85383880
	s_mul_i32 s61, s2, s67                                     // 000000008F08: 923D4302
	s_mul_i32 s60, s84, s74                                    // 000000008F0C: 923C4A54
	s_add_u32 s60, s60, s61                                    // 000000008F10: 803C3D3C
	s_add_u32 s12, s60, s12                                    // 000000008F14: 800C0C3C
	s_addc_u32 s13, 0, s13                                     // 000000008F18: 820D0D80
	s_mul_i32 s60, s7, 0x420                                   // 000000008F1C: 923CFF07 00000420
	s_add_u32 m0, 0, s60                                       // 000000008F24: 807C3C80
	s_mul_i32 s60, s7, 0x100                                   // 000000008F28: 923CFF07 00000100
	v_lshlrev_b32_e32 v39, 2, v0                               // 000000008F30: 244E0082
	v_add_u32_e64 v39, v39, s60                                // 000000008F34: D1340027 00007927
	v_add_u32_e32 v40, 0x400, v39                              // 000000008F3C: 68504EFF 00000400
	buffer_load_dword v39, s[12:15], 0 offen lds               // 000000008F44: E0511000 80030027
	s_add_u32 m0, m0, 0x100                                    // 000000008F4C: 807CFF7C 00000100
	buffer_load_dword v40, s[12:15], 0 offen lds               // 000000008F54: E0511000 80030028
	s_add_u32 m0, m0, 0x100                                    // 000000008F5C: 807CFF7C 00000100
	s_add_u32 s12, s74, s12                                    // 000000008F64: 800C0C4A
	s_addc_u32 s13, 0, s13                                     // 000000008F68: 820D0D80
	buffer_load_dword v39, s[12:15], 0 offen lds               // 000000008F6C: E0511000 80030027
	s_add_u32 m0, m0, 0x100                                    // 000000008F74: 807CFF7C 00000100
	buffer_load_dword v40, s[12:15], 0 offen lds               // 000000008F7C: E0511000 80030028
	s_mul_i32 s60, 4, 0x420                                    // 000000008F84: 923CFF84 00000420
	s_mul_i32 s61, s7, 0x420                                   // 000000008F8C: 923DFF07 00000420
	s_add_u32 m0, s60, s61                                     // 000000008F94: 807C3D3C
	s_add_u32 s12, s74, s12                                    // 000000008F98: 800C0C4A
	s_addc_u32 s13, 0, s13                                     // 000000008F9C: 820D0D80
	buffer_load_dword v39, s[12:15], 0 offen lds               // 000000008FA0: E0511000 80030027
	s_add_u32 m0, m0, 0x100                                    // 000000008FA8: 807CFF7C 00000100
	buffer_load_dword v40, s[12:15], 0 offen lds               // 000000008FB0: E0511000 80030028
	s_add_u32 m0, m0, 0x100                                    // 000000008FB8: 807CFF7C 00000100
	s_add_u32 s12, s74, s12                                    // 000000008FC0: 800C0C4A
	s_addc_u32 s13, 0, s13                                     // 000000008FC4: 820D0D80
	s_branch label_1BDB                                        // 000000008FC8: BF820067

0000000000008fcc <label_1B74>:
	s_mul_i32 s60, s3, s65                                     // 000000008FCC: 923C4103
	s_mul_i32 s60, s60, 4                                      // 000000008FD0: 923C843C
	s_add_u32 s24, s60, s24                                    // 000000008FD4: 8018183C
	s_addc_u32 s25, 0, s25                                     // 000000008FD8: 82191980
	s_mov_b32 s56, 64                                          // 000000008FDC: BEB800C0
	s_waitcnt lgkmcnt(0)                                       // 000000008FE0: BF8CC07F
	s_add_u32 s73, s72, 15                                     // 000000008FE4: 80498F48
	s_lshr_b32 s73, s73, 4                                     // 000000008FE8: 8F498449
	s_mul_i32 s60, s73, 4                                      // 000000008FEC: 923C8449
	s_mov_b32 s26, s60                                         // 000000008FF0: BE9A003C
	v_and_b32_e32 v40, 3, v0                                   // 000000008FF4: 26500083
	v_cmp_eq_u32_e64 s[60:61], 0, v40                          // 000000008FF8: D0CA003C 00025080
	v_and_b32_e32 v39, 12, v0                                  // 000000009000: 264E008C
	v_add_u32_e32 v1, s7, v39                                  // 000000009004: 68024E07
	v_cndmask_b32_e64 v1, 0, v1, s[60:61]                      // 000000009008: D1000001 00F20280
	v_and_b32_e32 v40, 3, v0                                   // 000000009010: 26500083
	v_cmp_eq_u32_e64 s[60:61], 0, v40                          // 000000009014: D0CA003C 00025080
	v_lshrrev_b32_e32 v39, 5, v0                               // 00000000901C: 204E0085
	v_and_b32_e32 v40, 14, v0                                  // 000000009020: 2650008E
	v_add_u32_e32 v39, v40, v39                                // 000000009024: 684E4F28
	v_cndmask_b32_e64 v39, v39, 0, s[60:61]                    // 000000009028: D1000027 00F10127
	v_add_u32_e32 v1, v1, v39                                  // 000000009030: 68024F01
	v_lshlrev_b32_e32 v1, 2, v1                                // 000000009034: 24020282
	v_writelane_b32 v1, 56, 7                                  // 000000009038: D28A0001 00010EB8
	v_writelane_b32 v1, 56, 23                                 // 000000009040: D28A0001 00012EB8
	v_writelane_b32 v1, 60, 39                                 // 000000009048: D28A0001 00014EBC
	v_writelane_b32 v1, 60, 55                                 // 000000009050: D28A0001 00016EBC
	buffer_load_dword v17, v1, s[24:27], 0 offen               // 000000009058: E0501000 80061101
	v_add_u32_e32 v1, s56, v1                                  // 000000009060: 68020238
	buffer_load_dword v18, v1, s[24:27], 0 offen               // 000000009064: E0501000 80061201
	s_cmp_le_u32 s73, 32                                       // 00000000906C: BF0BA049
	s_cselect_b32 s56, 0, s56                                  // 000000009070: 85383880
	s_mul_i32 s61, s2, s67                                     // 000000009074: 923D4302
	s_mul_i32 s60, s84, s74                                    // 000000009078: 923C4A54
	s_add_u32 s60, s60, s61                                    // 00000000907C: 803C3D3C
	s_add_u32 s12, s60, s12                                    // 000000009080: 800C0C3C
	s_addc_u32 s13, 0, s13                                     // 000000009084: 820D0D80
	s_mul_i32 s60, s7, 0x420                                   // 000000009088: 923CFF07 00000420
	s_add_u32 m0, 0, s60                                       // 000000009090: 807C3C80
	s_mul_i32 s60, s7, 0x100                                   // 000000009094: 923CFF07 00000100
	v_lshlrev_b32_e32 v39, 2, v0                               // 00000000909C: 244E0082
	v_add_u32_e64 v39, v39, s60                                // 0000000090A0: D1340027 00007927
	v_add_u32_e32 v40, 0x400, v39                              // 0000000090A8: 68504EFF 00000400
	buffer_load_dword v39, s[12:15], 0 offen lds               // 0000000090B0: E0511000 80030027
	s_add_u32 m0, m0, 0x100                                    // 0000000090B8: 807CFF7C 00000100
	buffer_load_dword v40, s[12:15], 0 offen lds               // 0000000090C0: E0511000 80030028
	s_add_u32 m0, m0, 0x100                                    // 0000000090C8: 807CFF7C 00000100
	s_add_u32 s12, s74, s12                                    // 0000000090D0: 800C0C4A
	s_addc_u32 s13, 0, s13                                     // 0000000090D4: 820D0D80
	buffer_load_dword v39, s[12:15], 0 offen lds               // 0000000090D8: E0511000 80030027
	s_add_u32 m0, m0, 0x100                                    // 0000000090E0: 807CFF7C 00000100
	buffer_load_dword v40, s[12:15], 0 offen lds               // 0000000090E8: E0511000 80030028
	s_mul_i32 s60, 4, 0x420                                    // 0000000090F0: 923CFF84 00000420
	s_mul_i32 s61, s7, 0x420                                   // 0000000090F8: 923DFF07 00000420
	s_add_u32 m0, s60, s61                                     // 000000009100: 807C3D3C
	s_add_u32 s12, s74, s12                                    // 000000009104: 800C0C4A
	s_addc_u32 s13, 0, s13                                     // 000000009108: 820D0D80
	buffer_load_dword v39, s[12:15], 0 offen lds               // 00000000910C: E0511000 80030027
	s_add_u32 m0, m0, 0x100                                    // 000000009114: 807CFF7C 00000100
	buffer_load_dword v40, s[12:15], 0 offen lds               // 00000000911C: E0511000 80030028
	s_add_u32 m0, m0, 0x100                                    // 000000009124: 807CFF7C 00000100
	s_add_u32 s12, s74, s12                                    // 00000000912C: 800C0C4A
	s_addc_u32 s13, 0, s13                                     // 000000009130: 820D0D80
	buffer_load_dword v39, s[12:15], 0 offen lds               // 000000009134: E0511000 80030027
	s_add_u32 m0, m0, 0x100                                    // 00000000913C: 807CFF7C 00000100
	buffer_load_dword v40, s[12:15], 0 offen lds               // 000000009144: E0511000 80030028
	s_mul_i32 s60, 4, 0x420                                    // 00000000914C: 923CFF84 00000420
	s_mul_i32 s61, s7, 0x420                                   // 000000009154: 923DFF07 00000420
	s_add_u32 m0, s60, s61                                     // 00000000915C: 807C3D3C
	s_add_u32 s12, s74, s12                                    // 000000009160: 800C0C4A
	s_addc_u32 s13, 0, s13                                     // 000000009164: 820D0D80

0000000000009168 <label_1BDB>:
	s_mul_i32 s61, s2, s76                                     // 000000009168: 923D4C02
	s_mul_i32 s60, s84, s75                                    // 00000000916C: 923C4B54
	s_add_u32 s60, s60, s61                                    // 000000009170: 803C3D3C
	s_add_u32 s8, s60, s8                                      // 000000009174: 8008083C
	s_addc_u32 s9, 0, s9                                       // 000000009178: 82090980
	s_mul_i32 s60, s7, 0x100                                   // 00000000917C: 923CFF07 00000100
	v_lshlrev_b32_e32 v8, 2, v0                                // 000000009184: 24100082
	v_add_u32_e64 v8, v8, s60                                  // 000000009188: D1340008 00007908
	s_mov_b32 s70, 0                                           // 000000009190: BEC60080
	s_and_b32 s71, s72, 0xffffff00                             // 000000009194: 8647FF48 FFFFFF00
	v_mov_b32_e32 v54, s68                                     // 00000000919C: 7E6C0244
	v_mov_b32_e32 v9, -1                                       // 0000000091A0: 7E1202C1
	s_mov_b32 s52, 0x7060302                                   // 0000000091A4: BEB400FF 07060302
	s_mov_b32 s53, 0x400                                       // 0000000091AC: BEB500FF 00000400
	s_mov_b32 s54, 0x40100                                     // 0000000091B4: BEB600FF 00040100
	s_mov_b32 s55, 0x4020100                                   // 0000000091BC: BEB700FF 04020100
	v_mov_b32_dpp v9, v9 row_shl:8 row_mask:0xf bank_mask:0xf bound_ctrl:1// 0000000091C4: 7E1202FA FF090809
	s_mov_b32 s6, 0x3fb8aa3b                                   // 0000000091CC: BE8600FF 3FB8AA3B
	v_mov_b32_e32 v14, 0xff800000                              // 0000000091D4: 7E1C02FF FF800000
	v_mov_b32_e32 v15, 0xff800000                              // 0000000091DC: 7E1E02FF FF800000
	v_mov_b32_e32 v55, 0xff800000                              // 0000000091E4: 7E6E02FF FF800000
	v_mov_b32_e32 v51, 0                                       // 0000000091EC: 7E660280
	v_mov_b32_e32 v52, 0                                       // 0000000091F0: 7E680280
	v_mov_b32_e32 v43, 0                                       // 0000000091F4: 7E560280
	v_mov_b32_e32 v44, 0                                       // 0000000091F8: 7E580280
	v_mov_b32_e32 v20, 0xffff0000                              // 0000000091FC: 7E2802FF FFFF0000
	v_mov_b32_e32 v21, 0x7fff0000                              // 000000009204: 7E2A02FF 7FFF0000
	v_mov_b32_e32 v22, 0x7fff                                  // 00000000920C: 7E2C02FF 00007FFF
	v_add_u32_e32 v1, s56, v1                                  // 000000009214: 68020238
	v_and_b32_e32 v10, 15, v0                                  // 000000009218: 2614008F
	v_lshlrev_b32_e32 v10, 2, v10                              // 00000000921C: 24141482
	v_lshlrev_b32_e32 v11, 2, v0                               // 000000009220: 24160082
	s_mul_i32 s60, 0x100, s7                                   // 000000009224: 923C07FF 00000100
	v_add_u32_e32 v11, s60, v11                                // 00000000922C: 6816163C
	v_lshrrev_b32_e32 v39, 4, v0                               // 000000009230: 204E0084
	v_lshlrev_b32_e32 v40, 6, v39                              // 000000009234: 24504E86
	v_and_b32_e32 v39, 15, v0                                  // 000000009238: 264E008F
	v_lshlrev_b32_e32 v39, 1, v39                              // 00000000923C: 244E4E81
	v_add_u32_e32 v40, v39, v40                                // 000000009240: 68505127
	v_lshlrev_b32_e32 v12, 2, v40                              // 000000009244: 24185082
	v_lshlrev_b32_e32 v39, 3, v0                               // 000000009248: 244E0083
	s_mul_i32 s60, 0x200, s7                                   // 00000000924C: 923C07FF 00000200
	v_add_u32_e64 v13, v39, s60                                // 000000009254: D134000D 00007927
	v_lshlrev_b32_e32 v6, 4, v0                                // 00000000925C: 240C0084
	s_mul_i32 s60, s2, s69                                     // 000000009260: 923C4502
	s_add_u32 s16, s60, s16                                    // 000000009264: 8010103C
	s_addc_u32 s17, 0, s17                                     // 000000009268: 82111180
	v_and_b32_e32 v39, 15, v0                                  // 00000000926C: 264E008F
	v_lshlrev_b32_e32 v7, 4, v39                               // 000000009270: 240E4E84
	v_and_b32_e32 v39, 31, v0                                  // 000000009274: 264E009F
	v_lshrrev_b32_e32 v39, 4, v39                              // 000000009278: 204E4E84
	v_mul_i32_i24_e32 v39, 0x800, v39                          // 00000000927C: 0C4E4EFF 00000800
	v_add_u32_e32 v7, v39, v7                                  // 000000009284: 680E0F27
	s_mul_i32 s61, s2, s69                                     // 000000009288: 923D4502
	s_mul_i32 s60, s7, 0x100                                   // 00000000928C: 923CFF07 00000100
	s_add_u32 s60, s60, s61                                    // 000000009294: 803C3D3C
	s_add_u32 s20, s60, s20                                    // 000000009298: 8014143C
	s_addc_u32 s21, 0, s21                                     // 00000000929C: 82151580
	s_waitcnt vmcnt(4)                                         // 0000000092A0: BF8C0F74
	v_mul_u32_u24_dpp v39, v17, v54 row_newbcast:0 row_mask:0xf bank_mask:0xf// 0000000092A4: 104E6CFA FF015011
	v_mul_u32_u24_dpp v40, v17, v54 row_newbcast:4 row_mask:0xf bank_mask:0xf// 0000000092AC: 10506CFA FF015411
	v_mul_u32_u24_dpp v41, v17, v54 row_newbcast:8 row_mask:0xf bank_mask:0xf// 0000000092B4: 10526CFA FF015811
	v_mul_u32_u24_dpp v42, v17, v54 row_newbcast:12 row_mask:0xf bank_mask:0xf// 0000000092BC: 10546CFA FF015C11
	v_add_u32_e32 v23, v39, v6                                 // 0000000092C4: 682E0D27
	v_add_u32_e32 v24, v40, v6                                 // 0000000092C8: 68300D28
	v_add_u32_e32 v25, v41, v6                                 // 0000000092CC: 68320D29
	v_add_u32_e32 v26, v42, v6                                 // 0000000092D0: 68340D2A
	v_mul_u32_u24_dpp v39, v17, v54 row_newbcast:1 row_mask:0xf bank_mask:0xf// 0000000092D4: 104E6CFA FF015111
	v_mul_u32_u24_dpp v40, v17, v54 row_newbcast:2 row_mask:0xf bank_mask:0xf// 0000000092DC: 10506CFA FF015211
	v_mul_u32_u24_dpp v41, v17, v54 row_newbcast:5 row_mask:0xf bank_mask:0xf// 0000000092E4: 10526CFA FF015511
	v_mul_u32_u24_dpp v42, v17, v54 row_newbcast:6 row_mask:0xf bank_mask:0xf// 0000000092EC: 10546CFA FF015611
	v_add_u32_e32 v192, v39, v7                                // 0000000092F4: 69800F27
	v_add_u32_e32 v193, v40, v7                                // 0000000092F8: 69820F28
	v_add_u32_e32 v194, v41, v7                                // 0000000092FC: 69840F29
	v_add_u32_e32 v195, v42, v7                                // 000000009300: 69860F2A
	v_mul_u32_u24_dpp v39, v17, v54 row_newbcast:9 row_mask:0xf bank_mask:0xf// 000000009304: 104E6CFA FF015911
	v_mul_u32_u24_dpp v40, v17, v54 row_newbcast:10 row_mask:0xf bank_mask:0xf// 00000000930C: 10506CFA FF015A11
	v_mul_u32_u24_dpp v41, v17, v54 row_newbcast:13 row_mask:0xf bank_mask:0xf// 000000009314: 10526CFA FF015D11
	v_mul_u32_u24_dpp v42, v17, v54 row_newbcast:7 row_mask:0xf bank_mask:0xf// 00000000931C: 10546CFA FF015711
	v_add_u32_e32 v196, v39, v7                                // 000000009324: 69880F27
	v_add_u32_e32 v197, v40, v7                                // 000000009328: 698A0F28
	v_add_u32_e32 v198, v41, v7                                // 00000000932C: 698C0F29
	v_add_u32_e32 v199, v42, v7                                // 000000009330: 698E0F2A
	buffer_load_dwordx4 a[0:3], v23, s[16:19], 0 offen         // 000000009334: E05C1000 80840017
	buffer_load_dwordx4 a[4:7], v23, s[16:19], 0 offen offset:1024// 00000000933C: E05C1400 80840417
	buffer_load_dwordx4 a[8:11], v23, s[16:19], 0 offen offset:2048// 000000009344: E05C1800 80840817
	buffer_load_dwordx4 a[12:15], v23, s[16:19], 0 offen offset:3072// 00000000934C: E05C1C00 80840C17
	buffer_load_dwordx4 a[16:19], v24, s[16:19], 0 offen       // 000000009354: E05C1000 80841018
	buffer_load_dwordx4 a[20:23], v24, s[16:19], 0 offen offset:1024// 00000000935C: E05C1400 80841418
	buffer_load_dwordx4 a[24:27], v24, s[16:19], 0 offen offset:2048// 000000009364: E05C1800 80841818
	buffer_load_dwordx4 a[28:31], v24, s[16:19], 0 offen offset:3072// 00000000936C: E05C1C00 80841C18
	buffer_load_dwordx4 a[32:35], v25, s[16:19], 0 offen       // 000000009374: E05C1000 80842019
	buffer_load_dwordx4 a[36:39], v25, s[16:19], 0 offen offset:1024// 00000000937C: E05C1400 80842419
	buffer_load_dwordx4 a[40:43], v25, s[16:19], 0 offen offset:2048// 000000009384: E05C1800 80842819
	buffer_load_dwordx4 a[44:47], v25, s[16:19], 0 offen offset:3072// 00000000938C: E05C1C00 80842C19
	buffer_load_dwordx4 a[48:51], v26, s[16:19], 0 offen       // 000000009394: E05C1000 8084301A
	buffer_load_dwordx4 a[52:55], v26, s[16:19], 0 offen offset:1024// 00000000939C: E05C1400 8084341A
	buffer_load_dwordx4 a[56:59], v26, s[16:19], 0 offen offset:2048// 0000000093A4: E05C1800 8084381A
	buffer_load_dwordx4 a[60:63], v26, s[16:19], 0 offen offset:3072// 0000000093AC: E05C1C00 80843C1A
	buffer_load_dwordx4 a[128:131], v192, s[20:23], 0 offen    // 0000000093B4: E05C1000 808580C0
	buffer_load_dwordx4 a[132:135], v193, s[20:23], 0 offen    // 0000000093BC: E05C1000 808584C1
	buffer_load_dwordx4 a[136:139], v194, s[20:23], 0 offen    // 0000000093C4: E05C1000 808588C2
	buffer_load_dwordx4 a[140:143], v195, s[20:23], 0 offen    // 0000000093CC: E05C1000 80858CC3
	buffer_load_dwordx4 a[144:147], v196, s[20:23], 0 offen    // 0000000093D4: E05C1000 808590C4
	buffer_load_dwordx4 a[148:151], v197, s[20:23], 0 offen    // 0000000093DC: E05C1000 808594C5
	buffer_load_dwordx4 a[152:155], v198, s[20:23], 0 offen    // 0000000093E4: E05C1000 808598C6
	buffer_load_dwordx4 a[156:159], v199, s[20:23], 0 offen    // 0000000093EC: E05C1000 80859CC7
	buffer_load_dwordx4 a[160:163], v192, s[20:23], 0 offen offset:1024// 0000000093F4: E05C1400 8085A0C0
	buffer_load_dwordx4 a[164:167], v193, s[20:23], 0 offen offset:1024// 0000000093FC: E05C1400 8085A4C1
	buffer_load_dwordx4 a[168:171], v194, s[20:23], 0 offen offset:1024// 000000009404: E05C1400 8085A8C2
	buffer_load_dwordx4 a[172:175], v195, s[20:23], 0 offen offset:1024// 00000000940C: E05C1400 8085ACC3
	buffer_load_dwordx4 a[176:179], v196, s[20:23], 0 offen offset:1024// 000000009414: E05C1400 8085B0C4
	buffer_load_dwordx4 a[180:183], v197, s[20:23], 0 offen offset:1024// 00000000941C: E05C1400 8085B4C5
	buffer_load_dwordx4 a[184:187], v198, s[20:23], 0 offen offset:1024// 000000009424: E05C1400 8085B8C6
	buffer_load_dwordx4 a[188:191], v199, s[20:23], 0 offen offset:1024// 00000000942C: E05C1400 8085BCC7
	v_lshrrev_b32_e32 v39, 4, v0                               // 000000009434: 204E0084
	v_lshlrev_b32_e32 v40, 2, v39                              // 000000009438: 24504E82
	v_and_b32_e32 v39, 15, v0                                  // 00000000943C: 264E008F
	v_lshrrev_b32_e32 v41, 2, v39                              // 000000009440: 20524E82
	v_lshlrev_b32_e32 v41, 6, v41                              // 000000009444: 24525286
	v_add_u32_e32 v40, v41, v40                                // 000000009448: 68505129
	v_and_b32_e32 v39, 3, v0                                   // 00000000944C: 264E0083
	v_mul_i32_i24_e32 v41, 0x108, v39                          // 000000009450: 0C524EFF 00000108
	v_add_u32_e32 v40, v41, v40                                // 000000009458: 68505129
	v_lshlrev_b32_e32 v4, 2, v40                               // 00000000945C: 24085082
	s_waitcnt vmcnt(32) lgkmcnt(0)                             // 000000009460: BF8C8070
	s_barrier                                                  // 000000009464: BF8A0000
	ds_read_b128 v[80:83], v4                                  // 000000009468: D9FE0000 50000004
	ds_read_b128 v[84:87], v4 offset:64                        // 000000009470: D9FE0040 54000004
	ds_read_b128 v[88:91], v4 offset:128                       // 000000009478: D9FE0080 58000004
	ds_read_b128 v[92:95], v4 offset:192                       // 000000009480: D9FE00C0 5C000004
	v_mov_b32_e32 v176, 0                                      // 000000009488: 7F600280
	v_mov_b32_e32 v177, 0                                      // 00000000948C: 7F620280
	v_mov_b32_e32 v178, 0                                      // 000000009490: 7F640280
	v_mov_b32_e32 v179, 0                                      // 000000009494: 7F660280
	v_mov_b32_e32 v180, 0                                      // 000000009498: 7F680280
	v_mov_b32_e32 v181, 0                                      // 00000000949C: 7F6A0280
	v_mov_b32_e32 v182, 0                                      // 0000000094A0: 7F6C0280
	v_mov_b32_e32 v183, 0                                      // 0000000094A4: 7F6E0280
	ds_read_b128 v[96:99], v4 offset:4224                      // 0000000094A8: D9FE1080 60000004
	ds_read_b128 v[100:103], v4 offset:4288                    // 0000000094B0: D9FE10C0 64000004
	ds_read_b128 v[104:107], v4 offset:4352                    // 0000000094B8: D9FE1100 68000004
	ds_read_b128 v[108:111], v4 offset:4416                    // 0000000094C0: D9FE1140 6C000004
	v_mov_b32_e32 v184, 0                                      // 0000000094C8: 7F700280
	v_mov_b32_e32 v185, 0                                      // 0000000094CC: 7F720280
	v_mov_b32_e32 v186, 0                                      // 0000000094D0: 7F740280
	v_mov_b32_e32 v187, 0                                      // 0000000094D4: 7F760280
	v_mov_b32_e32 v188, 0                                      // 0000000094D8: 7F780280
	v_mov_b32_e32 v189, 0                                      // 0000000094DC: 7F7A0280
	v_mov_b32_e32 v190, 0                                      // 0000000094E0: 7F7C0280
	v_mov_b32_e32 v191, 0                                      // 0000000094E4: 7F7E0280
	s_waitcnt vmcnt(16) lgkmcnt(0)                             // 0000000094E8: BF8C4070
	s_barrier                                                  // 0000000094EC: BF8A0000
	v_mul_u32_u24_dpp v39, v18, v54 row_newbcast:0 row_mask:0xf bank_mask:0xf// 0000000094F0: 104E6CFA FF015012
	v_mul_u32_u24_dpp v40, v18, v54 row_newbcast:4 row_mask:0xf bank_mask:0xf// 0000000094F8: 10506CFA FF015412
	v_mul_u32_u24_dpp v41, v18, v54 row_newbcast:8 row_mask:0xf bank_mask:0xf// 000000009500: 10526CFA FF015812
	v_mul_u32_u24_dpp v42, v18, v54 row_newbcast:12 row_mask:0xf bank_mask:0xf// 000000009508: 10546CFA FF015C12
	v_add_u32_e32 v27, v39, v6                                 // 000000009510: 68360D27
	v_add_u32_e32 v28, v40, v6                                 // 000000009514: 68380D28
	v_add_u32_e32 v29, v41, v6                                 // 000000009518: 683A0D29
	v_add_u32_e32 v30, v42, v6                                 // 00000000951C: 683C0D2A
	v_mul_u32_u24_dpp v39, v18, v54 row_newbcast:1 row_mask:0xf bank_mask:0xf// 000000009520: 104E6CFA FF015112
	v_mul_u32_u24_dpp v40, v18, v54 row_newbcast:2 row_mask:0xf bank_mask:0xf// 000000009528: 10506CFA FF015212
	v_mul_u32_u24_dpp v41, v18, v54 row_newbcast:5 row_mask:0xf bank_mask:0xf// 000000009530: 10526CFA FF015512
	v_mul_u32_u24_dpp v42, v18, v54 row_newbcast:6 row_mask:0xf bank_mask:0xf// 000000009538: 10546CFA FF015612
	v_add_u32_e32 v200, v39, v7                                // 000000009540: 69900F27
	v_add_u32_e32 v201, v40, v7                                // 000000009544: 69920F28
	v_add_u32_e32 v202, v41, v7                                // 000000009548: 69940F29
	v_add_u32_e32 v203, v42, v7                                // 00000000954C: 69960F2A
	v_mul_u32_u24_dpp v39, v18, v54 row_newbcast:9 row_mask:0xf bank_mask:0xf// 000000009550: 104E6CFA FF015912
	v_mul_u32_u24_dpp v40, v18, v54 row_newbcast:10 row_mask:0xf bank_mask:0xf// 000000009558: 10506CFA FF015A12
	v_mul_u32_u24_dpp v41, v18, v54 row_newbcast:13 row_mask:0xf bank_mask:0xf// 000000009560: 10526CFA FF015D12
	v_mul_u32_u24_dpp v42, v18, v54 row_newbcast:7 row_mask:0xf bank_mask:0xf// 000000009568: 10546CFA FF015712
	v_add_u32_e32 v204, v39, v7                                // 000000009570: 69980F27
	v_add_u32_e32 v205, v40, v7                                // 000000009574: 699A0F28
	v_add_u32_e32 v206, v41, v7                                // 000000009578: 699C0F29
	v_add_u32_e32 v207, v42, v7                                // 00000000957C: 699E0F2A
	s_cmp_lt_u32 s73, 16                                       // 000000009580: BF0A9049
	s_cbranch_scc1 label_29A9                                  // 000000009584: BF850CC6
	s_cmp_lt_i32 s7, 2                                         // 000000009588: BF048207
	s_cbranch_scc0 label_2347                                  // 00000000958C: BF840662

0000000000009590 <label_1CE5>:
	s_waitcnt vmcnt(16) lgkmcnt(0)                             // 000000009590: BF8C4070
	v_mfma_f32_16x16x16_f16 v[112:115], a[0:1], v[80:81], 0    // 000000009594: D3CD0070 0A02A100
	v_mfma_f32_16x16x16_f16 v[112:115], a[2:3], v[82:83], v[112:115]// 00000000959C: D3CD0070 0DC2A502
	buffer_load_dwordx4 a[64:67], v27, s[16:19], 0 offen       // 0000000095A4: E05C1000 8084401B
	v_mfma_f32_16x16x16_f16 v[112:115], a[4:5], v[84:85], v[112:115]// 0000000095AC: D3CD0070 0DC2A904
	v_mfma_f32_16x16x16_f16 v[112:115], a[6:7], v[86:87], v[112:115]// 0000000095B4: D3CD0070 0DC2AD06
	buffer_load_dword v17, v1, s[24:27], 0 offen               // 0000000095BC: E0501000 80061101
	v_mfma_f32_16x16x16_f16 v[112:115], a[8:9], v[88:89], v[112:115]// 0000000095C4: D3CD0070 0DC2B108
	v_mfma_f32_16x16x16_f16 v[112:115], a[10:11], v[90:91], v[112:115]// 0000000095CC: D3CD0070 0DC2B50A
	buffer_load_dwordx4 a[68:71], v27, s[16:19], 0 offen offset:1024// 0000000095D4: E05C1400 8084441B
	v_mfma_f32_16x16x16_f16 v[112:115], a[12:13], v[92:93], v[112:115]// 0000000095DC: D3CD0070 0DC2B90C
	v_mfma_f32_16x16x16_f16 v[112:115], a[14:15], v[94:95], v[112:115]// 0000000095E4: D3CD0070 0DC2BD0E
	v_mfma_f32_16x16x16_f16 v[116:119], a[16:17], v[80:81], 0  // 0000000095EC: D3CD0074 0A02A110
	v_mfma_f32_16x16x16_f16 v[116:119], a[18:19], v[82:83], v[116:119]// 0000000095F4: D3CD0074 0DD2A512
	buffer_load_dwordx4 a[72:75], v27, s[16:19], 0 offen offset:2048// 0000000095FC: E05C1800 8084481B
	v_mfma_f32_16x16x16_f16 v[116:119], a[20:21], v[84:85], v[116:119]// 000000009604: D3CD0074 0DD2A914
	v_mfma_f32_16x16x16_f16 v[116:119], a[22:23], v[86:87], v[116:119]// 00000000960C: D3CD0074 0DD2AD16
	v_mfma_f32_16x16x16_f16 v[116:119], a[24:25], v[88:89], v[116:119]// 000000009614: D3CD0074 0DD2B118
	v_mfma_f32_16x16x16_f16 v[116:119], a[26:27], v[90:91], v[116:119]// 00000000961C: D3CD0074 0DD2B51A
	buffer_load_dwordx4 a[76:79], v27, s[16:19], 0 offen offset:3072// 000000009624: E05C1C00 80844C1B
	v_mfma_f32_16x16x16_f16 v[116:119], a[28:29], v[92:93], v[116:119]// 00000000962C: D3CD0074 0DD2B91C
	v_mfma_f32_16x16x16_f16 v[116:119], a[30:31], v[94:95], v[116:119]// 000000009634: D3CD0074 0DD2BD1E
	v_mfma_f32_16x16x16_f16 v[120:123], a[32:33], v[80:81], 0  // 00000000963C: D3CD0078 0A02A120
	v_mfma_f32_16x16x16_f16 v[120:123], a[34:35], v[82:83], v[120:123]// 000000009644: D3CD0078 0DE2A522
	buffer_load_dwordx4 a[80:83], v28, s[16:19], 0 offen       // 00000000964C: E05C1000 8084501C
	v_mfma_f32_16x16x16_f16 v[120:123], a[36:37], v[84:85], v[120:123]// 000000009654: D3CD0078 0DE2A924
	v_mfma_f32_16x16x16_f16 v[120:123], a[38:39], v[86:87], v[120:123]// 00000000965C: D3CD0078 0DE2AD26
	v_mfma_f32_16x16x16_f16 v[120:123], a[40:41], v[88:89], v[120:123]// 000000009664: D3CD0078 0DE2B128
	v_mfma_f32_16x16x16_f16 v[120:123], a[42:43], v[90:91], v[120:123]// 00000000966C: D3CD0078 0DE2B52A
	buffer_load_dwordx4 a[84:87], v28, s[16:19], 0 offen offset:1024// 000000009674: E05C1400 8084541C
	v_mfma_f32_16x16x16_f16 v[120:123], a[44:45], v[92:93], v[120:123]// 00000000967C: D3CD0078 0DE2B92C
	v_mfma_f32_16x16x16_f16 v[120:123], a[46:47], v[94:95], v[120:123]// 000000009684: D3CD0078 0DE2BD2E
	v_mfma_f32_16x16x16_f16 v[124:127], a[48:49], v[80:81], 0  // 00000000968C: D3CD007C 0A02A130
	v_mfma_f32_16x16x16_f16 v[124:127], a[50:51], v[82:83], v[124:127]// 000000009694: D3CD007C 0DF2A532
	buffer_load_dwordx4 a[88:91], v28, s[16:19], 0 offen offset:2048// 00000000969C: E05C1800 8084581C
	v_mfma_f32_16x16x16_f16 v[124:127], a[52:53], v[84:85], v[124:127]// 0000000096A4: D3CD007C 0DF2A934
	v_mfma_f32_16x16x16_f16 v[124:127], a[54:55], v[86:87], v[124:127]// 0000000096AC: D3CD007C 0DF2AD36
	v_mfma_f32_16x16x16_f16 v[124:127], a[56:57], v[88:89], v[124:127]// 0000000096B4: D3CD007C 0DF2B138
	v_mfma_f32_16x16x16_f16 v[124:127], a[58:59], v[90:91], v[124:127]// 0000000096BC: D3CD007C 0DF2B53A
	buffer_load_dwordx4 a[92:95], v28, s[16:19], 0 offen offset:3072// 0000000096C4: E05C1C00 80845C1C
	v_mfma_f32_16x16x16_f16 v[124:127], a[60:61], v[92:93], v[124:127]// 0000000096CC: D3CD007C 0DF2B93C
	v_mfma_f32_16x16x16_f16 v[124:127], a[62:63], v[94:95], v[124:127]// 0000000096D4: D3CD007C 0DF2BD3E
	s_waitcnt vmcnt(16) lgkmcnt(0)                             // 0000000096DC: BF8C4070
	v_mfma_f32_16x16x16_f16 v[144:147], a[0:1], v[96:97], 0    // 0000000096E0: D3CD0090 0A02C100
	v_mfma_f32_16x16x16_f16 v[144:147], a[2:3], v[98:99], v[144:147]// 0000000096E8: D3CD0090 0E42C502
	v_mfma_f32_16x16x16_f16 v[144:147], a[4:5], v[100:101], v[144:147]// 0000000096F0: D3CD0090 0E42C904
	v_mfma_f32_16x16x16_f16 v[144:147], a[6:7], v[102:103], v[144:147]// 0000000096F8: D3CD0090 0E42CD06
	v_mfma_f32_16x16x16_f16 v[144:147], a[8:9], v[104:105], v[144:147]// 000000009700: D3CD0090 0E42D108
	v_mfma_f32_16x16x16_f16 v[144:147], a[10:11], v[106:107], v[144:147]// 000000009708: D3CD0090 0E42D50A
	v_mfma_f32_16x16x16_f16 v[144:147], a[12:13], v[108:109], v[144:147]// 000000009710: D3CD0090 0E42D90C
	v_mfma_f32_16x16x16_f16 v[144:147], a[14:15], v[110:111], v[144:147]// 000000009718: D3CD0090 0E42DD0E
	v_mfma_f32_16x16x16_f16 v[148:151], a[16:17], v[96:97], 0  // 000000009720: D3CD0094 0A02C110
	v_mfma_f32_16x16x16_f16 v[148:151], a[18:19], v[98:99], v[148:151]// 000000009728: D3CD0094 0E52C512
	v_mfma_f32_16x16x16_f16 v[148:151], a[20:21], v[100:101], v[148:151]// 000000009730: D3CD0094 0E52C914
	v_mfma_f32_16x16x16_f16 v[148:151], a[22:23], v[102:103], v[148:151]// 000000009738: D3CD0094 0E52CD16
	v_mfma_f32_16x16x16_f16 v[148:151], a[24:25], v[104:105], v[148:151]// 000000009740: D3CD0094 0E52D118
	v_mfma_f32_16x16x16_f16 v[148:151], a[26:27], v[106:107], v[148:151]// 000000009748: D3CD0094 0E52D51A
	v_mfma_f32_16x16x16_f16 v[148:151], a[28:29], v[108:109], v[148:151]// 000000009750: D3CD0094 0E52D91C
	v_mfma_f32_16x16x16_f16 v[148:151], a[30:31], v[110:111], v[148:151]// 000000009758: D3CD0094 0E52DD1E
	v_mfma_f32_16x16x16_f16 v[152:155], a[32:33], v[96:97], 0  // 000000009760: D3CD0098 0A02C120
	v_mfma_f32_16x16x16_f16 v[152:155], a[34:35], v[98:99], v[152:155]// 000000009768: D3CD0098 0E62C522
	v_mfma_f32_16x16x16_f16 v[152:155], a[36:37], v[100:101], v[152:155]// 000000009770: D3CD0098 0E62C924
	v_mfma_f32_16x16x16_f16 v[152:155], a[38:39], v[102:103], v[152:155]// 000000009778: D3CD0098 0E62CD26
	v_mfma_f32_16x16x16_f16 v[152:155], a[40:41], v[104:105], v[152:155]// 000000009780: D3CD0098 0E62D128
	v_mfma_f32_16x16x16_f16 v[152:155], a[42:43], v[106:107], v[152:155]// 000000009788: D3CD0098 0E62D52A
	v_mfma_f32_16x16x16_f16 v[152:155], a[44:45], v[108:109], v[152:155]// 000000009790: D3CD0098 0E62D92C
	v_mfma_f32_16x16x16_f16 v[152:155], a[46:47], v[110:111], v[152:155]// 000000009798: D3CD0098 0E62DD2E
	v_mfma_f32_16x16x16_f16 v[156:159], a[48:49], v[96:97], 0  // 0000000097A0: D3CD009C 0A02C130
	v_mfma_f32_16x16x16_f16 v[156:159], a[50:51], v[98:99], v[156:159]// 0000000097A8: D3CD009C 0E72C532
	v_mfma_f32_16x16x16_f16 v[156:159], a[52:53], v[100:101], v[156:159]// 0000000097B0: D3CD009C 0E72C934
	v_mfma_f32_16x16x16_f16 v[156:159], a[54:55], v[102:103], v[156:159]// 0000000097B8: D3CD009C 0E72CD36
	v_mfma_f32_16x16x16_f16 v[156:159], a[56:57], v[104:105], v[156:159]// 0000000097C0: D3CD009C 0E72D138
	v_mfma_f32_16x16x16_f16 v[156:159], a[58:59], v[106:107], v[156:159]// 0000000097C8: D3CD009C 0E72D53A
	v_mfma_f32_16x16x16_f16 v[156:159], a[60:61], v[108:109], v[156:159]// 0000000097D0: D3CD009C 0E72D93C
	v_mfma_f32_16x16x16_f16 v[156:159], a[62:63], v[110:111], v[156:159]// 0000000097D8: D3CD009C 0E72DD3E
	buffer_load_dwordx4 a[96:99], v29, s[16:19], 0 offen       // 0000000097E0: E05C1000 8084601D
	s_nop 8                                                    // 0000000097E8: BF800008
	buffer_load_dwordx4 a[100:103], v29, s[16:19], 0 offen offset:1024// 0000000097EC: E05C1400 8084641D
	v_mov_b32_e32 v50, v112                                    // 0000000097F4: 7E640370
	v_max3_f32 v50, v112, v113, v50                            // 0000000097F8: D1D30032 04CAE370
	v_max3_f32 v50, v114, v115, v50                            // 000000009800: D1D30032 04CAE772
	v_max3_f32 v50, v116, v117, v50                            // 000000009808: D1D30032 04CAEB74
	v_max3_f32 v50, v118, v119, v50                            // 000000009810: D1D30032 04CAEF76
	v_max3_f32 v50, v120, v121, v50                            // 000000009818: D1D30032 04CAF378
	v_max3_f32 v50, v122, v123, v50                            // 000000009820: D1D30032 04CAF77A
	v_max3_f32 v50, v124, v125, v50                            // 000000009828: D1D30032 04CAFB7C
	v_max3_f32 v50, v126, v127, v50                            // 000000009830: D1D30032 04CAFF7E
	ds_write_b32 v11, v50                                      // 000000009838: D81A0000 0000320B
	buffer_load_dwordx4 a[104:107], v29, s[16:19], 0 offen offset:2048// 000000009840: E05C1800 8084681D
	s_waitcnt lgkmcnt(0)                                       // 000000009848: BF8CC07F
	s_barrier                                                  // 00000000984C: BF8A0000
	ds_read_b32 v64, v10                                       // 000000009850: D86C0000 4000000A
	buffer_load_dwordx4 a[108:111], v29, s[16:19], 0 offen offset:3072// 000000009858: E05C1C00 80846C1D
	ds_read_b32 v65, v10 offset:64                             // 000000009860: D86C0040 4100000A
	ds_read_b32 v66, v10 offset:128                            // 000000009868: D86C0080 4200000A
	ds_read_b32 v67, v10 offset:192                            // 000000009870: D86C00C0 4300000A
	ds_read_b32 v68, v10 offset:256                            // 000000009878: D86C0100 4400000A
	ds_read_b32 v69, v10 offset:320                            // 000000009880: D86C0140 4500000A
	ds_read_b32 v70, v10 offset:384                            // 000000009888: D86C0180 4600000A
	ds_read_b32 v71, v10 offset:448                            // 000000009890: D86C01C0 4700000A
	ds_read_b32 v72, v10 offset:512                            // 000000009898: D86C0200 4800000A
	buffer_load_dwordx4 a[112:115], v30, s[16:19], 0 offen     // 0000000098A0: E05C1000 8084701E
	ds_read_b32 v73, v10 offset:576                            // 0000000098A8: D86C0240 4900000A
	ds_read_b32 v74, v10 offset:640                            // 0000000098B0: D86C0280 4A00000A
	ds_read_b32 v75, v10 offset:704                            // 0000000098B8: D86C02C0 4B00000A
	ds_read_b32 v76, v10 offset:768                            // 0000000098C0: D86C0300 4C00000A
	ds_read_b32 v77, v10 offset:832                            // 0000000098C8: D86C0340 4D00000A
	ds_read_b32 v78, v10 offset:896                            // 0000000098D0: D86C0380 4E00000A
	ds_read_b32 v79, v10 offset:960                            // 0000000098D8: D86C03C0 4F00000A
	buffer_load_dwordx4 a[116:119], v30, s[16:19], 0 offen offset:1024// 0000000098E0: E05C1400 8084741E
	buffer_load_dwordx4 a[120:123], v30, s[16:19], 0 offen offset:2048// 0000000098E8: E05C1800 8084781E
	s_waitcnt lgkmcnt(0)                                       // 0000000098F0: BF8CC07F
	v_max3_f32 v50, v64, v65, v50                              // 0000000098F4: D1D30032 04CA8340
	v_max3_f32 v50, v66, v67, v50                              // 0000000098FC: D1D30032 04CA8742
	v_max3_f32 v50, v68, v69, v50                              // 000000009904: D1D30032 04CA8B44
	v_max3_f32 v50, v70, v71, v50                              // 00000000990C: D1D30032 04CA8F46
	v_max3_f32 v50, v72, v73, v50                              // 000000009914: D1D30032 04CA9348
	v_max3_f32 v50, v74, v75, v50                              // 00000000991C: D1D30032 04CA974A
	v_max3_f32 v50, v76, v77, v50                              // 000000009924: D1D30032 04CA9B4C
	v_max3_f32 v50, v78, v79, v50                              // 00000000992C: D1D30032 04CA9F4E
	buffer_load_dwordx4 a[124:127], v30, s[16:19], 0 offen offset:3072// 000000009934: E05C1C00 80847C1E
	v_cmp_eq_u32_e64 s[40:41], v55, v14                        // 00000000993C: D0CA0028 00021D37
	s_nop 1                                                    // 000000009944: BF800001
	v_max_f32_e32 v16, v50, v14                                // 000000009948: 16201D32
	v_sub_f32_e32 v51, v14, v16                                // 00000000994C: 0466210E
	v_cndmask_b32_e64 v51, v51, 0, s[40:41]                    // 000000009950: D1000033 00A10133
	v_mov_b32_e32 v14, v16                                     // 000000009958: 7E1C0310
	v_mul_f32_e32 v53, s64, v16                                // 00000000995C: 0A6A2040
	v_mul_f32_e32 v51, s64, v51                                // 000000009960: 0A666640
	v_exp_f32_e32 v51, v51                                     // 000000009964: 7E664133
	buffer_load_dwordx4 a[192:195], v200, s[20:23], 0 offen    // 000000009968: E05C1000 8085C0C8
	v_fma_f32 v112, v112, s64, -v53                            // 000000009970: D1CB0070 84D48170
	v_fma_f32 v113, v113, s64, -v53                            // 000000009978: D1CB0071 84D48171
	v_fma_f32 v114, v114, s64, -v53                            // 000000009980: D1CB0072 84D48172
	v_fma_f32 v115, v115, s64, -v53                            // 000000009988: D1CB0073 84D48173
	v_fma_f32 v116, v116, s64, -v53                            // 000000009990: D1CB0074 84D48174
	v_fma_f32 v117, v117, s64, -v53                            // 000000009998: D1CB0075 84D48175
	v_fma_f32 v118, v118, s64, -v53                            // 0000000099A0: D1CB0076 84D48176
	v_fma_f32 v119, v119, s64, -v53                            // 0000000099A8: D1CB0077 84D48177
	v_fma_f32 v120, v120, s64, -v53                            // 0000000099B0: D1CB0078 84D48178
	v_fma_f32 v121, v121, s64, -v53                            // 0000000099B8: D1CB0079 84D48179
	v_fma_f32 v122, v122, s64, -v53                            // 0000000099C0: D1CB007A 84D4817A
	v_fma_f32 v123, v123, s64, -v53                            // 0000000099C8: D1CB007B 84D4817B
	v_fma_f32 v124, v124, s64, -v53                            // 0000000099D0: D1CB007C 84D4817C
	v_fma_f32 v125, v125, s64, -v53                            // 0000000099D8: D1CB007D 84D4817D
	v_fma_f32 v126, v126, s64, -v53                            // 0000000099E0: D1CB007E 84D4817E
	v_fma_f32 v127, v127, s64, -v53                            // 0000000099E8: D1CB007F 84D4817F
	v_exp_f32_e32 v112, v112                                   // 0000000099F0: 7EE04170
	v_exp_f32_e32 v113, v113                                   // 0000000099F4: 7EE24171
	v_exp_f32_e32 v114, v114                                   // 0000000099F8: 7EE44172
	v_exp_f32_e32 v115, v115                                   // 0000000099FC: 7EE64173
	v_exp_f32_e32 v116, v116                                   // 000000009A00: 7EE84174
	v_exp_f32_e32 v117, v117                                   // 000000009A04: 7EEA4175
	v_exp_f32_e32 v118, v118                                   // 000000009A08: 7EEC4176
	v_exp_f32_e32 v119, v119                                   // 000000009A0C: 7EEE4177
	v_exp_f32_e32 v120, v120                                   // 000000009A10: 7EF04178
	v_exp_f32_e32 v121, v121                                   // 000000009A14: 7EF24179
	v_exp_f32_e32 v122, v122                                   // 000000009A18: 7EF4417A
	v_exp_f32_e32 v123, v123                                   // 000000009A1C: 7EF6417B
	v_exp_f32_e32 v124, v124                                   // 000000009A20: 7EF8417C
	v_exp_f32_e32 v125, v125                                   // 000000009A24: 7EFA417D
	v_exp_f32_e32 v126, v126                                   // 000000009A28: 7EFC417E
	v_exp_f32_e32 v127, v127                                   // 000000009A2C: 7EFE417F
	buffer_load_dwordx4 a[196:199], v201, s[20:23], 0 offen    // 000000009A30: E05C1000 8085C4C9
	v_mul_f32_e32 v43, v51, v43                                // 000000009A38: 0A565733
	v_mov_b32_e32 v45, v112                                    // 000000009A3C: 7E5A0370
	v_add_f32_e32 v45, v113, v45                               // 000000009A40: 025A5B71
	v_add_f32_e32 v45, v114, v45                               // 000000009A44: 025A5B72
	v_add_f32_e32 v45, v115, v45                               // 000000009A48: 025A5B73
	v_add_f32_e32 v45, v116, v45                               // 000000009A4C: 025A5B74
	v_add_f32_e32 v45, v117, v45                               // 000000009A50: 025A5B75
	v_add_f32_e32 v45, v118, v45                               // 000000009A54: 025A5B76
	v_add_f32_e32 v45, v119, v45                               // 000000009A58: 025A5B77
	v_add_f32_e32 v45, v120, v45                               // 000000009A5C: 025A5B78
	v_add_f32_e32 v45, v121, v45                               // 000000009A60: 025A5B79
	v_add_f32_e32 v45, v122, v45                               // 000000009A64: 025A5B7A
	v_add_f32_e32 v45, v123, v45                               // 000000009A68: 025A5B7B
	v_add_f32_e32 v45, v124, v45                               // 000000009A6C: 025A5B7C
	v_add_f32_e32 v45, v125, v45                               // 000000009A70: 025A5B7D
	v_add_f32_e32 v45, v126, v45                               // 000000009A74: 025A5B7E
	v_add_f32_e32 v45, v127, v45                               // 000000009A78: 025A5B7F
	v_add_f32_e32 v43, v45, v43                                // 000000009A7C: 0256572D
	buffer_load_dwordx4 a[200:203], v202, s[20:23], 0 offen    // 000000009A80: E05C1000 8085C8CA
	v_cvt_pkrtz_f16_f32 v39, v112, v113                        // 000000009A88: D2960027 0002E370
	v_mov_b32_e32 v112, v39                                    // 000000009A90: 7EE00327
	v_cvt_pkrtz_f16_f32 v39, v114, v115                        // 000000009A94: D2960027 0002E772
	v_mov_b32_e32 v113, v39                                    // 000000009A9C: 7EE20327
	v_cvt_pkrtz_f16_f32 v39, v116, v117                        // 000000009AA0: D2960027 0002EB74
	v_mov_b32_e32 v114, v39                                    // 000000009AA8: 7EE40327
	v_cvt_pkrtz_f16_f32 v39, v118, v119                        // 000000009AAC: D2960027 0002EF76
	v_mov_b32_e32 v115, v39                                    // 000000009AB4: 7EE60327
	v_cvt_pkrtz_f16_f32 v39, v120, v121                        // 000000009AB8: D2960027 0002F378
	v_mov_b32_e32 v116, v39                                    // 000000009AC0: 7EE80327
	v_cvt_pkrtz_f16_f32 v39, v122, v123                        // 000000009AC4: D2960027 0002F77A
	v_mov_b32_e32 v117, v39                                    // 000000009ACC: 7EEA0327
	v_cvt_pkrtz_f16_f32 v39, v124, v125                        // 000000009AD0: D2960027 0002FB7C
	v_mov_b32_e32 v118, v39                                    // 000000009AD8: 7EEC0327
	v_cvt_pkrtz_f16_f32 v39, v126, v127                        // 000000009ADC: D2960027 0002FF7E
	v_mov_b32_e32 v119, v39                                    // 000000009AE4: 7EEE0327
	buffer_load_dwordx4 a[204:207], v203, s[20:23], 0 offen    // 000000009AE8: E05C1000 8085CCCB
	buffer_load_dwordx4 a[208:211], v204, s[20:23], 0 offen    // 000000009AF0: E05C1000 8085D0CC
	ds_write_b64 v13, v[112:113] offset:4096                   // 000000009AF8: D89A1000 0000700D
	ds_write_b64 v13, v[114:115] offset:6144                   // 000000009B00: D89A1800 0000720D
	ds_write_b64 v13, v[116:117] offset:8192                   // 000000009B08: D89A2000 0000740D
	ds_write_b64 v13, v[118:119] offset:10240                  // 000000009B10: D89A2800 0000760D
	buffer_load_dwordx4 a[212:215], v205, s[20:23], 0 offen    // 000000009B18: E05C1000 8085D4CD
	s_waitcnt lgkmcnt(0)                                       // 000000009B20: BF8CC07F
	s_barrier                                                  // 000000009B24: BF8A0000
	ds_read_b64 v[112:113], v12 offset:4096                    // 000000009B28: D8EC1000 7000000C
	ds_read_b64 v[114:115], v12 offset:4224                    // 000000009B30: D8EC1080 7200000C
	ds_read_b64 v[116:117], v12 offset:5120                    // 000000009B38: D8EC1400 7400000C
	ds_read_b64 v[118:119], v12 offset:5248                    // 000000009B40: D8EC1480 7600000C
	ds_read_b64 v[120:121], v12 offset:6144                    // 000000009B48: D8EC1800 7800000C
	ds_read_b64 v[122:123], v12 offset:6272                    // 000000009B50: D8EC1880 7A00000C
	ds_read_b64 v[124:125], v12 offset:7168                    // 000000009B58: D8EC1C00 7C00000C
	ds_read_b64 v[126:127], v12 offset:7296                    // 000000009B60: D8EC1C80 7E00000C
	ds_read_b64 v[128:129], v12 offset:8192                    // 000000009B68: D8EC2000 8000000C
	ds_read_b64 v[130:131], v12 offset:8320                    // 000000009B70: D8EC2080 8200000C
	ds_read_b64 v[132:133], v12 offset:9216                    // 000000009B78: D8EC2400 8400000C
	ds_read_b64 v[134:135], v12 offset:9344                    // 000000009B80: D8EC2480 8600000C
	ds_read_b64 v[136:137], v12 offset:10240                   // 000000009B88: D8EC2800 8800000C
	ds_read_b64 v[138:139], v12 offset:10368                   // 000000009B90: D8EC2880 8A00000C
	ds_read_b64 v[140:141], v12 offset:11264                   // 000000009B98: D8EC2C00 8C00000C
	ds_read_b64 v[142:143], v12 offset:11392                   // 000000009BA0: D8EC2C80 8E00000C
	buffer_load_dwordx4 a[216:219], v206, s[20:23], 0 offen    // 000000009BA8: E05C1000 8085D8CE
	buffer_load_dwordx4 a[220:223], v207, s[20:23], 0 offen    // 000000009BB0: E05C1000 8085DCCF
	s_waitcnt lgkmcnt(0)                                       // 000000009BB8: BF8CC07F
	s_nop 8                                                    // 000000009BBC: BF800008
	v_mov_b32_e32 v50, v144                                    // 000000009BC0: 7E640390
	v_max3_f32 v50, v144, v145, v50                            // 000000009BC4: D1D30032 04CB2390
	v_max3_f32 v50, v146, v147, v50                            // 000000009BCC: D1D30032 04CB2792
	v_max3_f32 v50, v148, v149, v50                            // 000000009BD4: D1D30032 04CB2B94
	v_max3_f32 v50, v150, v151, v50                            // 000000009BDC: D1D30032 04CB2F96
	v_max3_f32 v50, v152, v153, v50                            // 000000009BE4: D1D30032 04CB3398
	v_max3_f32 v50, v154, v155, v50                            // 000000009BEC: D1D30032 04CB379A
	v_max3_f32 v50, v156, v157, v50                            // 000000009BF4: D1D30032 04CB3B9C
	v_max3_f32 v50, v158, v159, v50                            // 000000009BFC: D1D30032 04CB3F9E
	ds_write_b32 v11, v50                                      // 000000009C04: D81A0000 0000320B
	s_waitcnt lgkmcnt(0)                                       // 000000009C0C: BF8CC07F
	s_barrier                                                  // 000000009C10: BF8A0000
	ds_read_b32 v64, v10                                       // 000000009C14: D86C0000 4000000A
	ds_read_b32 v65, v10 offset:64                             // 000000009C1C: D86C0040 4100000A
	ds_read_b32 v66, v10 offset:128                            // 000000009C24: D86C0080 4200000A
	ds_read_b32 v67, v10 offset:192                            // 000000009C2C: D86C00C0 4300000A
	ds_read_b32 v68, v10 offset:256                            // 000000009C34: D86C0100 4400000A
	ds_read_b32 v69, v10 offset:320                            // 000000009C3C: D86C0140 4500000A
	ds_read_b32 v70, v10 offset:384                            // 000000009C44: D86C0180 4600000A
	ds_read_b32 v71, v10 offset:448                            // 000000009C4C: D86C01C0 4700000A
	ds_read_b32 v72, v10 offset:512                            // 000000009C54: D86C0200 4800000A
	ds_read_b32 v73, v10 offset:576                            // 000000009C5C: D86C0240 4900000A
	ds_read_b32 v74, v10 offset:640                            // 000000009C64: D86C0280 4A00000A
	ds_read_b32 v75, v10 offset:704                            // 000000009C6C: D86C02C0 4B00000A
	ds_read_b32 v76, v10 offset:768                            // 000000009C74: D86C0300 4C00000A
	ds_read_b32 v77, v10 offset:832                            // 000000009C7C: D86C0340 4D00000A
	ds_read_b32 v78, v10 offset:896                            // 000000009C84: D86C0380 4E00000A
	ds_read_b32 v79, v10 offset:960                            // 000000009C8C: D86C03C0 4F00000A
	s_waitcnt lgkmcnt(0)                                       // 000000009C94: BF8CC07F
	v_max3_f32 v50, v64, v65, v50                              // 000000009C98: D1D30032 04CA8340
	v_max3_f32 v50, v66, v67, v50                              // 000000009CA0: D1D30032 04CA8742
	v_max3_f32 v50, v68, v69, v50                              // 000000009CA8: D1D30032 04CA8B44
	v_max3_f32 v50, v70, v71, v50                              // 000000009CB0: D1D30032 04CA8F46
	v_max3_f32 v50, v72, v73, v50                              // 000000009CB8: D1D30032 04CA9348
	v_max3_f32 v50, v74, v75, v50                              // 000000009CC0: D1D30032 04CA974A
	v_max3_f32 v50, v76, v77, v50                              // 000000009CC8: D1D30032 04CA9B4C
	v_max3_f32 v50, v78, v79, v50                              // 000000009CD0: D1D30032 04CA9F4E
	v_cmp_eq_u32_e64 s[40:41], v55, v15                        // 000000009CD8: D0CA0028 00021F37
	s_nop 1                                                    // 000000009CE0: BF800001
	v_max_f32_e32 v16, v50, v15                                // 000000009CE4: 16201F32
	v_sub_f32_e32 v52, v15, v16                                // 000000009CE8: 0468210F
	v_cndmask_b32_e64 v52, v52, 0, s[40:41]                    // 000000009CEC: D1000034 00A10134
	v_mov_b32_e32 v15, v16                                     // 000000009CF4: 7E1E0310
	v_mul_f32_e32 v53, s64, v16                                // 000000009CF8: 0A6A2040
	v_mul_f32_e32 v52, s64, v52                                // 000000009CFC: 0A686840
	v_exp_f32_e32 v52, v52                                     // 000000009D00: 7E684134
	v_fma_f32 v144, v144, s64, -v53                            // 000000009D04: D1CB0090 84D48190
	v_fma_f32 v145, v145, s64, -v53                            // 000000009D0C: D1CB0091 84D48191
	v_fma_f32 v146, v146, s64, -v53                            // 000000009D14: D1CB0092 84D48192
	v_fma_f32 v147, v147, s64, -v53                            // 000000009D1C: D1CB0093 84D48193
	v_fma_f32 v148, v148, s64, -v53                            // 000000009D24: D1CB0094 84D48194
	v_fma_f32 v149, v149, s64, -v53                            // 000000009D2C: D1CB0095 84D48195
	v_fma_f32 v150, v150, s64, -v53                            // 000000009D34: D1CB0096 84D48196
	v_fma_f32 v151, v151, s64, -v53                            // 000000009D3C: D1CB0097 84D48197
	v_fma_f32 v152, v152, s64, -v53                            // 000000009D44: D1CB0098 84D48198
	v_fma_f32 v153, v153, s64, -v53                            // 000000009D4C: D1CB0099 84D48199
	v_fma_f32 v154, v154, s64, -v53                            // 000000009D54: D1CB009A 84D4819A
	v_fma_f32 v155, v155, s64, -v53                            // 000000009D5C: D1CB009B 84D4819B
	v_fma_f32 v156, v156, s64, -v53                            // 000000009D64: D1CB009C 84D4819C
	v_fma_f32 v157, v157, s64, -v53                            // 000000009D6C: D1CB009D 84D4819D
	v_fma_f32 v158, v158, s64, -v53                            // 000000009D74: D1CB009E 84D4819E
	v_fma_f32 v159, v159, s64, -v53                            // 000000009D7C: D1CB009F 84D4819F
	v_exp_f32_e32 v144, v144                                   // 000000009D84: 7F204190
	v_exp_f32_e32 v145, v145                                   // 000000009D88: 7F224191
	v_exp_f32_e32 v146, v146                                   // 000000009D8C: 7F244192
	v_exp_f32_e32 v147, v147                                   // 000000009D90: 7F264193
	v_exp_f32_e32 v148, v148                                   // 000000009D94: 7F284194
	v_exp_f32_e32 v149, v149                                   // 000000009D98: 7F2A4195
	v_exp_f32_e32 v150, v150                                   // 000000009D9C: 7F2C4196
	v_exp_f32_e32 v151, v151                                   // 000000009DA0: 7F2E4197
	v_exp_f32_e32 v152, v152                                   // 000000009DA4: 7F304198
	v_exp_f32_e32 v153, v153                                   // 000000009DA8: 7F324199
	v_exp_f32_e32 v154, v154                                   // 000000009DAC: 7F34419A
	v_exp_f32_e32 v155, v155                                   // 000000009DB0: 7F36419B
	v_exp_f32_e32 v156, v156                                   // 000000009DB4: 7F38419C
	v_exp_f32_e32 v157, v157                                   // 000000009DB8: 7F3A419D
	v_exp_f32_e32 v158, v158                                   // 000000009DBC: 7F3C419E
	v_exp_f32_e32 v159, v159                                   // 000000009DC0: 7F3E419F
	v_mul_f32_e32 v44, v52, v44                                // 000000009DC4: 0A585934
	v_mov_b32_e32 v45, v144                                    // 000000009DC8: 7E5A0390
	v_add_f32_e32 v45, v145, v45                               // 000000009DCC: 025A5B91
	v_add_f32_e32 v45, v146, v45                               // 000000009DD0: 025A5B92
	v_add_f32_e32 v45, v147, v45                               // 000000009DD4: 025A5B93
	v_add_f32_e32 v45, v148, v45                               // 000000009DD8: 025A5B94
	v_add_f32_e32 v45, v149, v45                               // 000000009DDC: 025A5B95
	v_add_f32_e32 v45, v150, v45                               // 000000009DE0: 025A5B96
	v_add_f32_e32 v45, v151, v45                               // 000000009DE4: 025A5B97
	v_add_f32_e32 v45, v152, v45                               // 000000009DE8: 025A5B98
	v_add_f32_e32 v45, v153, v45                               // 000000009DEC: 025A5B99
	v_add_f32_e32 v45, v154, v45                               // 000000009DF0: 025A5B9A
	v_add_f32_e32 v45, v155, v45                               // 000000009DF4: 025A5B9B
	v_add_f32_e32 v45, v156, v45                               // 000000009DF8: 025A5B9C
	v_add_f32_e32 v45, v157, v45                               // 000000009DFC: 025A5B9D
	v_add_f32_e32 v45, v158, v45                               // 000000009E00: 025A5B9E
	v_add_f32_e32 v45, v159, v45                               // 000000009E04: 025A5B9F
	v_add_f32_e32 v44, v45, v44                                // 000000009E08: 0258592D
	v_cvt_pkrtz_f16_f32 v39, v144, v145                        // 000000009E0C: D2960027 00032390
	v_mov_b32_e32 v144, v39                                    // 000000009E14: 7F200327
	v_cvt_pkrtz_f16_f32 v39, v146, v147                        // 000000009E18: D2960027 00032792
	v_mov_b32_e32 v145, v39                                    // 000000009E20: 7F220327
	v_cvt_pkrtz_f16_f32 v39, v148, v149                        // 000000009E24: D2960027 00032B94
	v_mov_b32_e32 v146, v39                                    // 000000009E2C: 7F240327
	v_cvt_pkrtz_f16_f32 v39, v150, v151                        // 000000009E30: D2960027 00032F96
	v_mov_b32_e32 v147, v39                                    // 000000009E38: 7F260327
	v_cvt_pkrtz_f16_f32 v39, v152, v153                        // 000000009E3C: D2960027 00033398
	v_mov_b32_e32 v148, v39                                    // 000000009E44: 7F280327
	v_cvt_pkrtz_f16_f32 v39, v154, v155                        // 000000009E48: D2960027 0003379A
	v_mov_b32_e32 v149, v39                                    // 000000009E50: 7F2A0327
	v_cvt_pkrtz_f16_f32 v39, v156, v157                        // 000000009E54: D2960027 00033B9C
	v_mov_b32_e32 v150, v39                                    // 000000009E5C: 7F2C0327
	v_cvt_pkrtz_f16_f32 v39, v158, v159                        // 000000009E60: D2960027 00033F9E
	v_mov_b32_e32 v151, v39                                    // 000000009E68: 7F2E0327
	ds_write_b64 v13, v[144:145] offset:4096                   // 000000009E6C: D89A1000 0000900D
	ds_write_b64 v13, v[146:147] offset:6144                   // 000000009E74: D89A1800 0000920D
	ds_write_b64 v13, v[148:149] offset:8192                   // 000000009E7C: D89A2000 0000940D
	ds_write_b64 v13, v[150:151] offset:10240                  // 000000009E84: D89A2800 0000960D
	s_waitcnt lgkmcnt(0)                                       // 000000009E8C: BF8CC07F
	s_barrier                                                  // 000000009E90: BF8A0000
	ds_read_b64 v[144:145], v12 offset:4096                    // 000000009E94: D8EC1000 9000000C
	ds_read_b64 v[146:147], v12 offset:4224                    // 000000009E9C: D8EC1080 9200000C
	ds_read_b64 v[148:149], v12 offset:5120                    // 000000009EA4: D8EC1400 9400000C
	ds_read_b64 v[150:151], v12 offset:5248                    // 000000009EAC: D8EC1480 9600000C
	ds_read_b64 v[152:153], v12 offset:6144                    // 000000009EB4: D8EC1800 9800000C
	ds_read_b64 v[154:155], v12 offset:6272                    // 000000009EBC: D8EC1880 9A00000C
	ds_read_b64 v[156:157], v12 offset:7168                    // 000000009EC4: D8EC1C00 9C00000C
	ds_read_b64 v[158:159], v12 offset:7296                    // 000000009ECC: D8EC1C80 9E00000C
	ds_read_b64 v[160:161], v12 offset:8192                    // 000000009ED4: D8EC2000 A000000C
	ds_read_b64 v[162:163], v12 offset:8320                    // 000000009EDC: D8EC2080 A200000C
	ds_read_b64 v[164:165], v12 offset:9216                    // 000000009EE4: D8EC2400 A400000C
	ds_read_b64 v[166:167], v12 offset:9344                    // 000000009EEC: D8EC2480 A600000C
	ds_read_b64 v[168:169], v12 offset:10240                   // 000000009EF4: D8EC2800 A800000C
	ds_read_b64 v[170:171], v12 offset:10368                   // 000000009EFC: D8EC2880 AA00000C
	ds_read_b64 v[172:173], v12 offset:11264                   // 000000009F04: D8EC2C00 AC00000C
	ds_read_b64 v[174:175], v12 offset:11392                   // 000000009F0C: D8EC2C80 AE00000C
	s_waitcnt lgkmcnt(0)                                       // 000000009F14: BF8CC07F
	v_mul_f32_e32 v176, v51, v176                              // 000000009F18: 0B616133
	v_mul_f32_e32 v177, v51, v177                              // 000000009F1C: 0B636333
	v_mul_f32_e32 v178, v51, v178                              // 000000009F20: 0B656533
	v_mul_f32_e32 v179, v51, v179                              // 000000009F24: 0B676733
	v_mul_f32_e32 v180, v51, v180                              // 000000009F28: 0B696933
	v_mul_f32_e32 v181, v51, v181                              // 000000009F2C: 0B6B6B33
	v_mul_f32_e32 v182, v51, v182                              // 000000009F30: 0B6D6D33
	v_mul_f32_e32 v183, v51, v183                              // 000000009F34: 0B6F6F33
	v_mul_f32_e32 v184, v52, v184                              // 000000009F38: 0B717134
	v_mul_f32_e32 v185, v52, v185                              // 000000009F3C: 0B737334
	v_mul_f32_e32 v186, v52, v186                              // 000000009F40: 0B757534
	v_mul_f32_e32 v187, v52, v187                              // 000000009F44: 0B777734
	v_mul_f32_e32 v188, v52, v188                              // 000000009F48: 0B797934
	v_mul_f32_e32 v189, v52, v189                              // 000000009F4C: 0B7B7B34
	v_mul_f32_e32 v190, v52, v190                              // 000000009F50: 0B7D7D34
	v_mul_f32_e32 v191, v52, v191                              // 000000009F54: 0B7F7F34
	s_waitcnt vmcnt(24)                                        // 000000009F58: BF8C4F78
	v_mfma_f32_16x16x16_f16 v[176:179], a[128:129], v[112:113], v[176:179]// 000000009F5C: D3CD00B0 0EC2E180
	v_mfma_f32_16x16x16_f16 v[176:179], a[130:131], v[114:115], v[176:179]// 000000009F64: D3CD00B0 0EC2E582
	buffer_load_dwordx4 a[224:227], v200, s[20:23], 0 offen offset:1024// 000000009F6C: E05C1400 8085E0C8
	v_mfma_f32_16x16x16_f16 v[176:179], a[132:133], v[116:117], v[176:179]// 000000009F74: D3CD00B0 0EC2E984
	v_mfma_f32_16x16x16_f16 v[176:179], a[134:135], v[118:119], v[176:179]// 000000009F7C: D3CD00B0 0EC2ED86
	v_mfma_f32_16x16x16_f16 v[176:179], a[136:137], v[120:121], v[176:179]// 000000009F84: D3CD00B0 0EC2F188
	v_mfma_f32_16x16x16_f16 v[176:179], a[138:139], v[122:123], v[176:179]// 000000009F8C: D3CD00B0 0EC2F58A
	buffer_load_dwordx4 a[228:231], v201, s[20:23], 0 offen offset:1024// 000000009F94: E05C1400 8085E4C9
	v_mfma_f32_16x16x16_f16 v[176:179], a[140:141], v[124:125], v[176:179]// 000000009F9C: D3CD00B0 0EC2F98C
	v_mfma_f32_16x16x16_f16 v[176:179], a[142:143], v[126:127], v[176:179]// 000000009FA4: D3CD00B0 0EC2FD8E
	v_mfma_f32_16x16x16_f16 v[176:179], a[144:145], v[128:129], v[176:179]// 000000009FAC: D3CD00B0 0EC30190
	v_mfma_f32_16x16x16_f16 v[176:179], a[146:147], v[130:131], v[176:179]// 000000009FB4: D3CD00B0 0EC30592
	buffer_load_dwordx4 a[232:235], v202, s[20:23], 0 offen offset:1024// 000000009FBC: E05C1400 8085E8CA
	v_mfma_f32_16x16x16_f16 v[176:179], a[148:149], v[132:133], v[176:179]// 000000009FC4: D3CD00B0 0EC30994
	v_mfma_f32_16x16x16_f16 v[176:179], a[150:151], v[134:135], v[176:179]// 000000009FCC: D3CD00B0 0EC30D96
	v_mfma_f32_16x16x16_f16 v[176:179], a[152:153], v[136:137], v[176:179]// 000000009FD4: D3CD00B0 0EC31198
	v_mfma_f32_16x16x16_f16 v[176:179], a[154:155], v[138:139], v[176:179]// 000000009FDC: D3CD00B0 0EC3159A
	buffer_load_dwordx4 a[236:239], v203, s[20:23], 0 offen offset:1024// 000000009FE4: E05C1400 8085ECCB
	v_mfma_f32_16x16x16_f16 v[176:179], a[156:157], v[140:141], v[176:179]// 000000009FEC: D3CD00B0 0EC3199C
	v_mfma_f32_16x16x16_f16 v[176:179], a[158:159], v[142:143], v[176:179]// 000000009FF4: D3CD00B0 0EC31D9E
	v_mfma_f32_16x16x16_f16 v[180:183], a[160:161], v[112:113], v[180:183]// 000000009FFC: D3CD00B4 0ED2E1A0
	v_mfma_f32_16x16x16_f16 v[180:183], a[162:163], v[114:115], v[180:183]// 00000000A004: D3CD00B4 0ED2E5A2
	buffer_load_dwordx4 a[240:243], v204, s[20:23], 0 offen offset:1024// 00000000A00C: E05C1400 8085F0CC
	v_mfma_f32_16x16x16_f16 v[180:183], a[164:165], v[116:117], v[180:183]// 00000000A014: D3CD00B4 0ED2E9A4
	v_mfma_f32_16x16x16_f16 v[180:183], a[166:167], v[118:119], v[180:183]// 00000000A01C: D3CD00B4 0ED2EDA6
	v_mfma_f32_16x16x16_f16 v[180:183], a[168:169], v[120:121], v[180:183]// 00000000A024: D3CD00B4 0ED2F1A8
	v_mfma_f32_16x16x16_f16 v[180:183], a[170:171], v[122:123], v[180:183]// 00000000A02C: D3CD00B4 0ED2F5AA
	buffer_load_dwordx4 a[244:247], v205, s[20:23], 0 offen offset:1024// 00000000A034: E05C1400 8085F4CD
	v_mfma_f32_16x16x16_f16 v[180:183], a[172:173], v[124:125], v[180:183]// 00000000A03C: D3CD00B4 0ED2F9AC
	v_mfma_f32_16x16x16_f16 v[180:183], a[174:175], v[126:127], v[180:183]// 00000000A044: D3CD00B4 0ED2FDAE
	v_mfma_f32_16x16x16_f16 v[180:183], a[176:177], v[128:129], v[180:183]// 00000000A04C: D3CD00B4 0ED301B0
	v_mfma_f32_16x16x16_f16 v[180:183], a[178:179], v[130:131], v[180:183]// 00000000A054: D3CD00B4 0ED305B2
	buffer_load_dwordx4 a[248:251], v206, s[20:23], 0 offen offset:1024// 00000000A05C: E05C1400 8085F8CE
	v_mfma_f32_16x16x16_f16 v[180:183], a[180:181], v[132:133], v[180:183]// 00000000A064: D3CD00B4 0ED309B4
	v_mfma_f32_16x16x16_f16 v[180:183], a[182:183], v[134:135], v[180:183]// 00000000A06C: D3CD00B4 0ED30DB6
	v_mfma_f32_16x16x16_f16 v[180:183], a[184:185], v[136:137], v[180:183]// 00000000A074: D3CD00B4 0ED311B8
	v_mfma_f32_16x16x16_f16 v[180:183], a[186:187], v[138:139], v[180:183]// 00000000A07C: D3CD00B4 0ED315BA
	buffer_load_dwordx4 a[252:255], v207, s[20:23], 0 offen offset:1024// 00000000A084: E05C1400 8085FCCF
	v_mfma_f32_16x16x16_f16 v[180:183], a[188:189], v[140:141], v[180:183]// 00000000A08C: D3CD00B4 0ED319BC
	v_mfma_f32_16x16x16_f16 v[180:183], a[190:191], v[142:143], v[180:183]// 00000000A094: D3CD00B4 0ED31DBE
	v_mfma_f32_16x16x16_f16 v[184:187], a[128:129], v[144:145], v[184:187]// 00000000A09C: D3CD00B8 0EE32180
	v_mfma_f32_16x16x16_f16 v[184:187], a[130:131], v[146:147], v[184:187]// 00000000A0A4: D3CD00B8 0EE32582
	v_mfma_f32_16x16x16_f16 v[184:187], a[132:133], v[148:149], v[184:187]// 00000000A0AC: D3CD00B8 0EE32984
	v_mfma_f32_16x16x16_f16 v[184:187], a[134:135], v[150:151], v[184:187]// 00000000A0B4: D3CD00B8 0EE32D86
	v_mfma_f32_16x16x16_f16 v[184:187], a[136:137], v[152:153], v[184:187]// 00000000A0BC: D3CD00B8 0EE33188
	v_mfma_f32_16x16x16_f16 v[184:187], a[138:139], v[154:155], v[184:187]// 00000000A0C4: D3CD00B8 0EE3358A
	v_mfma_f32_16x16x16_f16 v[184:187], a[140:141], v[156:157], v[184:187]// 00000000A0CC: D3CD00B8 0EE3398C
	v_mfma_f32_16x16x16_f16 v[184:187], a[142:143], v[158:159], v[184:187]// 00000000A0D4: D3CD00B8 0EE33D8E
	v_mfma_f32_16x16x16_f16 v[184:187], a[144:145], v[160:161], v[184:187]// 00000000A0DC: D3CD00B8 0EE34190
	v_mfma_f32_16x16x16_f16 v[184:187], a[146:147], v[162:163], v[184:187]// 00000000A0E4: D3CD00B8 0EE34592
	v_mfma_f32_16x16x16_f16 v[184:187], a[148:149], v[164:165], v[184:187]// 00000000A0EC: D3CD00B8 0EE34994
	v_mfma_f32_16x16x16_f16 v[184:187], a[150:151], v[166:167], v[184:187]// 00000000A0F4: D3CD00B8 0EE34D96
	v_mfma_f32_16x16x16_f16 v[184:187], a[152:153], v[168:169], v[184:187]// 00000000A0FC: D3CD00B8 0EE35198
	v_mfma_f32_16x16x16_f16 v[184:187], a[154:155], v[170:171], v[184:187]// 00000000A104: D3CD00B8 0EE3559A
	v_mfma_f32_16x16x16_f16 v[184:187], a[156:157], v[172:173], v[184:187]// 00000000A10C: D3CD00B8 0EE3599C
	v_mfma_f32_16x16x16_f16 v[184:187], a[158:159], v[174:175], v[184:187]// 00000000A114: D3CD00B8 0EE35D9E
	v_mfma_f32_16x16x16_f16 v[188:191], a[160:161], v[144:145], v[188:191]// 00000000A11C: D3CD00BC 0EF321A0
	v_mfma_f32_16x16x16_f16 v[188:191], a[162:163], v[146:147], v[188:191]// 00000000A124: D3CD00BC 0EF325A2
	v_mfma_f32_16x16x16_f16 v[188:191], a[164:165], v[148:149], v[188:191]// 00000000A12C: D3CD00BC 0EF329A4
	v_mfma_f32_16x16x16_f16 v[188:191], a[166:167], v[150:151], v[188:191]// 00000000A134: D3CD00BC 0EF32DA6
	v_mfma_f32_16x16x16_f16 v[188:191], a[168:169], v[152:153], v[188:191]// 00000000A13C: D3CD00BC 0EF331A8
	v_mfma_f32_16x16x16_f16 v[188:191], a[170:171], v[154:155], v[188:191]// 00000000A144: D3CD00BC 0EF335AA
	v_mfma_f32_16x16x16_f16 v[188:191], a[172:173], v[156:157], v[188:191]// 00000000A14C: D3CD00BC 0EF339AC
	v_mfma_f32_16x16x16_f16 v[188:191], a[174:175], v[158:159], v[188:191]// 00000000A154: D3CD00BC 0EF33DAE
	v_mfma_f32_16x16x16_f16 v[188:191], a[176:177], v[160:161], v[188:191]// 00000000A15C: D3CD00BC 0EF341B0
	v_mfma_f32_16x16x16_f16 v[188:191], a[178:179], v[162:163], v[188:191]// 00000000A164: D3CD00BC 0EF345B2
	v_mfma_f32_16x16x16_f16 v[188:191], a[180:181], v[164:165], v[188:191]// 00000000A16C: D3CD00BC 0EF349B4
	v_mfma_f32_16x16x16_f16 v[188:191], a[182:183], v[166:167], v[188:191]// 00000000A174: D3CD00BC 0EF34DB6
	v_mfma_f32_16x16x16_f16 v[188:191], a[184:185], v[168:169], v[188:191]// 00000000A17C: D3CD00BC 0EF351B8
	v_mfma_f32_16x16x16_f16 v[188:191], a[186:187], v[170:171], v[188:191]// 00000000A184: D3CD00BC 0EF355BA
	v_mfma_f32_16x16x16_f16 v[188:191], a[188:189], v[172:173], v[188:191]// 00000000A18C: D3CD00BC 0EF359BC
	v_mfma_f32_16x16x16_f16 v[188:191], a[190:191], v[174:175], v[188:191]// 00000000A194: D3CD00BC 0EF35DBE
	s_lshr_b32 s60, s70, 4                                     // 00000000A19C: 8F3C8446
	s_add_u32 s60, 48, s60                                     // 00000000A1A0: 803C3CB0
	s_cmp_ge_u32 s60, s73                                      // 00000000A1A4: BF09493C
	s_cselect_b32 s56, 0, s56                                  // 00000000A1A8: 85383880
	v_mul_u32_u24_dpp v39, v17, v54 row_newbcast:0 row_mask:0xf bank_mask:0xf// 00000000A1AC: 104E6CFA FF015011
	v_mul_u32_u24_dpp v40, v17, v54 row_newbcast:4 row_mask:0xf bank_mask:0xf// 00000000A1B4: 10506CFA FF015411
	v_mul_u32_u24_dpp v41, v17, v54 row_newbcast:8 row_mask:0xf bank_mask:0xf// 00000000A1BC: 10526CFA FF015811
	v_mul_u32_u24_dpp v42, v17, v54 row_newbcast:12 row_mask:0xf bank_mask:0xf// 00000000A1C4: 10546CFA FF015C11
	v_add_u32_e32 v23, v39, v6                                 // 00000000A1CC: 682E0D27
	v_add_u32_e32 v24, v40, v6                                 // 00000000A1D0: 68300D28
	v_add_u32_e32 v25, v41, v6                                 // 00000000A1D4: 68320D29
	v_add_u32_e32 v26, v42, v6                                 // 00000000A1D8: 68340D2A
	v_mul_u32_u24_dpp v39, v17, v54 row_newbcast:1 row_mask:0xf bank_mask:0xf// 00000000A1DC: 104E6CFA FF015111
	v_mul_u32_u24_dpp v40, v17, v54 row_newbcast:2 row_mask:0xf bank_mask:0xf// 00000000A1E4: 10506CFA FF015211
	v_mul_u32_u24_dpp v41, v17, v54 row_newbcast:5 row_mask:0xf bank_mask:0xf// 00000000A1EC: 10526CFA FF015511
	v_mul_u32_u24_dpp v42, v17, v54 row_newbcast:6 row_mask:0xf bank_mask:0xf// 00000000A1F4: 10546CFA FF015611
	v_add_u32_e32 v192, v39, v7                                // 00000000A1FC: 69800F27
	v_add_u32_e32 v193, v40, v7                                // 00000000A200: 69820F28
	v_add_u32_e32 v194, v41, v7                                // 00000000A204: 69840F29
	v_add_u32_e32 v195, v42, v7                                // 00000000A208: 69860F2A
	v_mul_u32_u24_dpp v39, v17, v54 row_newbcast:9 row_mask:0xf bank_mask:0xf// 00000000A20C: 104E6CFA FF015911
	v_mul_u32_u24_dpp v40, v17, v54 row_newbcast:10 row_mask:0xf bank_mask:0xf// 00000000A214: 10506CFA FF015A11
	v_mul_u32_u24_dpp v41, v17, v54 row_newbcast:13 row_mask:0xf bank_mask:0xf// 00000000A21C: 10526CFA FF015D11
	v_mul_u32_u24_dpp v42, v17, v54 row_newbcast:7 row_mask:0xf bank_mask:0xf// 00000000A224: 10546CFA FF015711
	v_add_u32_e32 v196, v39, v7                                // 00000000A22C: 69880F27
	v_add_u32_e32 v197, v40, v7                                // 00000000A230: 698A0F28
	v_add_u32_e32 v198, v41, v7                                // 00000000A234: 698C0F29
	v_add_u32_e32 v199, v42, v7                                // 00000000A238: 698E0F2A
	v_add_u32_e32 v1, s56, v1                                  // 00000000A23C: 68020238
	s_addk_i32 s70, 0x100                                      // 00000000A240: B7460100
	s_cmp_lt_i32 s70, s71                                      // 00000000A244: BF044746
	s_cbranch_scc0 label_2344                                  // 00000000A248: BF840330
	s_waitcnt vmcnt(16) lgkmcnt(0)                             // 00000000A24C: BF8C4070
	v_mfma_f32_16x16x16_f16 v[112:115], a[64:65], v[80:81], 0  // 00000000A250: D3CD0070 0A02A140
	v_mfma_f32_16x16x16_f16 v[112:115], a[66:67], v[82:83], v[112:115]// 00000000A258: D3CD0070 0DC2A542
	buffer_load_dwordx4 a[0:3], v23, s[16:19], 0 offen         // 00000000A260: E05C1000 80840017
	v_mfma_f32_16x16x16_f16 v[112:115], a[68:69], v[84:85], v[112:115]// 00000000A268: D3CD0070 0DC2A944
	v_mfma_f32_16x16x16_f16 v[112:115], a[70:71], v[86:87], v[112:115]// 00000000A270: D3CD0070 0DC2AD46
	buffer_load_dword v18, v1, s[24:27], 0 offen               // 00000000A278: E0501000 80061201
	v_mfma_f32_16x16x16_f16 v[112:115], a[72:73], v[88:89], v[112:115]// 00000000A280: D3CD0070 0DC2B148
	v_mfma_f32_16x16x16_f16 v[112:115], a[74:75], v[90:91], v[112:115]// 00000000A288: D3CD0070 0DC2B54A
	buffer_load_dwordx4 a[4:7], v23, s[16:19], 0 offen offset:1024// 00000000A290: E05C1400 80840417
	v_mfma_f32_16x16x16_f16 v[112:115], a[76:77], v[92:93], v[112:115]// 00000000A298: D3CD0070 0DC2B94C
	v_mfma_f32_16x16x16_f16 v[112:115], a[78:79], v[94:95], v[112:115]// 00000000A2A0: D3CD0070 0DC2BD4E
	v_mfma_f32_16x16x16_f16 v[116:119], a[80:81], v[80:81], 0  // 00000000A2A8: D3CD0074 0A02A150
	v_mfma_f32_16x16x16_f16 v[116:119], a[82:83], v[82:83], v[116:119]// 00000000A2B0: D3CD0074 0DD2A552
	buffer_load_dwordx4 a[8:11], v23, s[16:19], 0 offen offset:2048// 00000000A2B8: E05C1800 80840817
	v_mfma_f32_16x16x16_f16 v[116:119], a[84:85], v[84:85], v[116:119]// 00000000A2C0: D3CD0074 0DD2A954
	v_mfma_f32_16x16x16_f16 v[116:119], a[86:87], v[86:87], v[116:119]// 00000000A2C8: D3CD0074 0DD2AD56
	v_mfma_f32_16x16x16_f16 v[116:119], a[88:89], v[88:89], v[116:119]// 00000000A2D0: D3CD0074 0DD2B158
	v_mfma_f32_16x16x16_f16 v[116:119], a[90:91], v[90:91], v[116:119]// 00000000A2D8: D3CD0074 0DD2B55A
	buffer_load_dwordx4 a[12:15], v23, s[16:19], 0 offen offset:3072// 00000000A2E0: E05C1C00 80840C17
	v_mfma_f32_16x16x16_f16 v[116:119], a[92:93], v[92:93], v[116:119]// 00000000A2E8: D3CD0074 0DD2B95C
	v_mfma_f32_16x16x16_f16 v[116:119], a[94:95], v[94:95], v[116:119]// 00000000A2F0: D3CD0074 0DD2BD5E
	v_mfma_f32_16x16x16_f16 v[120:123], a[96:97], v[80:81], 0  // 00000000A2F8: D3CD0078 0A02A160
	v_mfma_f32_16x16x16_f16 v[120:123], a[98:99], v[82:83], v[120:123]// 00000000A300: D3CD0078 0DE2A562
	buffer_load_dwordx4 a[16:19], v24, s[16:19], 0 offen       // 00000000A308: E05C1000 80841018
	v_mfma_f32_16x16x16_f16 v[120:123], a[100:101], v[84:85], v[120:123]// 00000000A310: D3CD0078 0DE2A964
	v_mfma_f32_16x16x16_f16 v[120:123], a[102:103], v[86:87], v[120:123]// 00000000A318: D3CD0078 0DE2AD66
	v_mfma_f32_16x16x16_f16 v[120:123], a[104:105], v[88:89], v[120:123]// 00000000A320: D3CD0078 0DE2B168
	v_mfma_f32_16x16x16_f16 v[120:123], a[106:107], v[90:91], v[120:123]// 00000000A328: D3CD0078 0DE2B56A
	buffer_load_dwordx4 a[20:23], v24, s[16:19], 0 offen offset:1024// 00000000A330: E05C1400 80841418
	v_mfma_f32_16x16x16_f16 v[120:123], a[108:109], v[92:93], v[120:123]// 00000000A338: D3CD0078 0DE2B96C
	v_mfma_f32_16x16x16_f16 v[120:123], a[110:111], v[94:95], v[120:123]// 00000000A340: D3CD0078 0DE2BD6E
	v_mfma_f32_16x16x16_f16 v[124:127], a[112:113], v[80:81], 0// 00000000A348: D3CD007C 0A02A170
	v_mfma_f32_16x16x16_f16 v[124:127], a[114:115], v[82:83], v[124:127]// 00000000A350: D3CD007C 0DF2A572
	buffer_load_dwordx4 a[24:27], v24, s[16:19], 0 offen offset:2048// 00000000A358: E05C1800 80841818
	v_mfma_f32_16x16x16_f16 v[124:127], a[116:117], v[84:85], v[124:127]// 00000000A360: D3CD007C 0DF2A974
	v_mfma_f32_16x16x16_f16 v[124:127], a[118:119], v[86:87], v[124:127]// 00000000A368: D3CD007C 0DF2AD76
	v_mfma_f32_16x16x16_f16 v[124:127], a[120:121], v[88:89], v[124:127]// 00000000A370: D3CD007C 0DF2B178
	v_mfma_f32_16x16x16_f16 v[124:127], a[122:123], v[90:91], v[124:127]// 00000000A378: D3CD007C 0DF2B57A
	buffer_load_dwordx4 a[28:31], v24, s[16:19], 0 offen offset:3072// 00000000A380: E05C1C00 80841C18
	v_mfma_f32_16x16x16_f16 v[124:127], a[124:125], v[92:93], v[124:127]// 00000000A388: D3CD007C 0DF2B97C
	v_mfma_f32_16x16x16_f16 v[124:127], a[126:127], v[94:95], v[124:127]// 00000000A390: D3CD007C 0DF2BD7E
	s_waitcnt vmcnt(16) lgkmcnt(0)                             // 00000000A398: BF8C4070
	v_mfma_f32_16x16x16_f16 v[144:147], a[64:65], v[96:97], 0  // 00000000A39C: D3CD0090 0A02C140
	v_mfma_f32_16x16x16_f16 v[144:147], a[66:67], v[98:99], v[144:147]// 00000000A3A4: D3CD0090 0E42C542
	v_mfma_f32_16x16x16_f16 v[144:147], a[68:69], v[100:101], v[144:147]// 00000000A3AC: D3CD0090 0E42C944
	v_mfma_f32_16x16x16_f16 v[144:147], a[70:71], v[102:103], v[144:147]// 00000000A3B4: D3CD0090 0E42CD46
	v_mfma_f32_16x16x16_f16 v[144:147], a[72:73], v[104:105], v[144:147]// 00000000A3BC: D3CD0090 0E42D148
	v_mfma_f32_16x16x16_f16 v[144:147], a[74:75], v[106:107], v[144:147]// 00000000A3C4: D3CD0090 0E42D54A
	v_mfma_f32_16x16x16_f16 v[144:147], a[76:77], v[108:109], v[144:147]// 00000000A3CC: D3CD0090 0E42D94C
	v_mfma_f32_16x16x16_f16 v[144:147], a[78:79], v[110:111], v[144:147]// 00000000A3D4: D3CD0090 0E42DD4E
	v_mfma_f32_16x16x16_f16 v[148:151], a[80:81], v[96:97], 0  // 00000000A3DC: D3CD0094 0A02C150
	v_mfma_f32_16x16x16_f16 v[148:151], a[82:83], v[98:99], v[148:151]// 00000000A3E4: D3CD0094 0E52C552
	v_mfma_f32_16x16x16_f16 v[148:151], a[84:85], v[100:101], v[148:151]// 00000000A3EC: D3CD0094 0E52C954
	v_mfma_f32_16x16x16_f16 v[148:151], a[86:87], v[102:103], v[148:151]// 00000000A3F4: D3CD0094 0E52CD56
	v_mfma_f32_16x16x16_f16 v[148:151], a[88:89], v[104:105], v[148:151]// 00000000A3FC: D3CD0094 0E52D158
	v_mfma_f32_16x16x16_f16 v[148:151], a[90:91], v[106:107], v[148:151]// 00000000A404: D3CD0094 0E52D55A
	v_mfma_f32_16x16x16_f16 v[148:151], a[92:93], v[108:109], v[148:151]// 00000000A40C: D3CD0094 0E52D95C
	v_mfma_f32_16x16x16_f16 v[148:151], a[94:95], v[110:111], v[148:151]// 00000000A414: D3CD0094 0E52DD5E
	v_mfma_f32_16x16x16_f16 v[152:155], a[96:97], v[96:97], 0  // 00000000A41C: D3CD0098 0A02C160
	v_mfma_f32_16x16x16_f16 v[152:155], a[98:99], v[98:99], v[152:155]// 00000000A424: D3CD0098 0E62C562
	v_mfma_f32_16x16x16_f16 v[152:155], a[100:101], v[100:101], v[152:155]// 00000000A42C: D3CD0098 0E62C964
	v_mfma_f32_16x16x16_f16 v[152:155], a[102:103], v[102:103], v[152:155]// 00000000A434: D3CD0098 0E62CD66
	v_mfma_f32_16x16x16_f16 v[152:155], a[104:105], v[104:105], v[152:155]// 00000000A43C: D3CD0098 0E62D168
	v_mfma_f32_16x16x16_f16 v[152:155], a[106:107], v[106:107], v[152:155]// 00000000A444: D3CD0098 0E62D56A
	v_mfma_f32_16x16x16_f16 v[152:155], a[108:109], v[108:109], v[152:155]// 00000000A44C: D3CD0098 0E62D96C
	v_mfma_f32_16x16x16_f16 v[152:155], a[110:111], v[110:111], v[152:155]// 00000000A454: D3CD0098 0E62DD6E
	v_mfma_f32_16x16x16_f16 v[156:159], a[112:113], v[96:97], 0// 00000000A45C: D3CD009C 0A02C170
	v_mfma_f32_16x16x16_f16 v[156:159], a[114:115], v[98:99], v[156:159]// 00000000A464: D3CD009C 0E72C572
	v_mfma_f32_16x16x16_f16 v[156:159], a[116:117], v[100:101], v[156:159]// 00000000A46C: D3CD009C 0E72C974
	v_mfma_f32_16x16x16_f16 v[156:159], a[118:119], v[102:103], v[156:159]// 00000000A474: D3CD009C 0E72CD76
	v_mfma_f32_16x16x16_f16 v[156:159], a[120:121], v[104:105], v[156:159]// 00000000A47C: D3CD009C 0E72D178
	v_mfma_f32_16x16x16_f16 v[156:159], a[122:123], v[106:107], v[156:159]// 00000000A484: D3CD009C 0E72D57A
	v_mfma_f32_16x16x16_f16 v[156:159], a[124:125], v[108:109], v[156:159]// 00000000A48C: D3CD009C 0E72D97C
	v_mfma_f32_16x16x16_f16 v[156:159], a[126:127], v[110:111], v[156:159]// 00000000A494: D3CD009C 0E72DD7E
	buffer_load_dwordx4 a[32:35], v25, s[16:19], 0 offen       // 00000000A49C: E05C1000 80842019
	s_nop 8                                                    // 00000000A4A4: BF800008
	buffer_load_dwordx4 a[36:39], v25, s[16:19], 0 offen offset:1024// 00000000A4A8: E05C1400 80842419
	v_mov_b32_e32 v50, v112                                    // 00000000A4B0: 7E640370
	v_max3_f32 v50, v112, v113, v50                            // 00000000A4B4: D1D30032 04CAE370
	v_max3_f32 v50, v114, v115, v50                            // 00000000A4BC: D1D30032 04CAE772
	v_max3_f32 v50, v116, v117, v50                            // 00000000A4C4: D1D30032 04CAEB74
	v_max3_f32 v50, v118, v119, v50                            // 00000000A4CC: D1D30032 04CAEF76
	v_max3_f32 v50, v120, v121, v50                            // 00000000A4D4: D1D30032 04CAF378
	v_max3_f32 v50, v122, v123, v50                            // 00000000A4DC: D1D30032 04CAF77A
	v_max3_f32 v50, v124, v125, v50                            // 00000000A4E4: D1D30032 04CAFB7C
	v_max3_f32 v50, v126, v127, v50                            // 00000000A4EC: D1D30032 04CAFF7E
	ds_write_b32 v11, v50                                      // 00000000A4F4: D81A0000 0000320B
	buffer_load_dwordx4 a[40:43], v25, s[16:19], 0 offen offset:2048// 00000000A4FC: E05C1800 80842819
	s_waitcnt lgkmcnt(0)                                       // 00000000A504: BF8CC07F
	s_barrier                                                  // 00000000A508: BF8A0000
	ds_read_b32 v64, v10                                       // 00000000A50C: D86C0000 4000000A
	buffer_load_dwordx4 a[44:47], v25, s[16:19], 0 offen offset:3072// 00000000A514: E05C1C00 80842C19
	ds_read_b32 v65, v10 offset:64                             // 00000000A51C: D86C0040 4100000A
	ds_read_b32 v66, v10 offset:128                            // 00000000A524: D86C0080 4200000A
	ds_read_b32 v67, v10 offset:192                            // 00000000A52C: D86C00C0 4300000A
	ds_read_b32 v68, v10 offset:256                            // 00000000A534: D86C0100 4400000A
	ds_read_b32 v69, v10 offset:320                            // 00000000A53C: D86C0140 4500000A
	ds_read_b32 v70, v10 offset:384                            // 00000000A544: D86C0180 4600000A
	ds_read_b32 v71, v10 offset:448                            // 00000000A54C: D86C01C0 4700000A
	ds_read_b32 v72, v10 offset:512                            // 00000000A554: D86C0200 4800000A
	buffer_load_dwordx4 a[48:51], v26, s[16:19], 0 offen       // 00000000A55C: E05C1000 8084301A
	ds_read_b32 v73, v10 offset:576                            // 00000000A564: D86C0240 4900000A
	ds_read_b32 v74, v10 offset:640                            // 00000000A56C: D86C0280 4A00000A
	ds_read_b32 v75, v10 offset:704                            // 00000000A574: D86C02C0 4B00000A
	ds_read_b32 v76, v10 offset:768                            // 00000000A57C: D86C0300 4C00000A
	ds_read_b32 v77, v10 offset:832                            // 00000000A584: D86C0340 4D00000A
	ds_read_b32 v78, v10 offset:896                            // 00000000A58C: D86C0380 4E00000A
	ds_read_b32 v79, v10 offset:960                            // 00000000A594: D86C03C0 4F00000A
	buffer_load_dwordx4 a[52:55], v26, s[16:19], 0 offen offset:1024// 00000000A59C: E05C1400 8084341A
	buffer_load_dwordx4 a[56:59], v26, s[16:19], 0 offen offset:2048// 00000000A5A4: E05C1800 8084381A
	s_waitcnt lgkmcnt(0)                                       // 00000000A5AC: BF8CC07F
	v_max3_f32 v50, v64, v65, v50                              // 00000000A5B0: D1D30032 04CA8340
	v_max3_f32 v50, v66, v67, v50                              // 00000000A5B8: D1D30032 04CA8742
	v_max3_f32 v50, v68, v69, v50                              // 00000000A5C0: D1D30032 04CA8B44
	v_max3_f32 v50, v70, v71, v50                              // 00000000A5C8: D1D30032 04CA8F46
	v_max3_f32 v50, v72, v73, v50                              // 00000000A5D0: D1D30032 04CA9348
	v_max3_f32 v50, v74, v75, v50                              // 00000000A5D8: D1D30032 04CA974A
	v_max3_f32 v50, v76, v77, v50                              // 00000000A5E0: D1D30032 04CA9B4C
	v_max3_f32 v50, v78, v79, v50                              // 00000000A5E8: D1D30032 04CA9F4E
	buffer_load_dwordx4 a[60:63], v26, s[16:19], 0 offen offset:3072// 00000000A5F0: E05C1C00 80843C1A
	v_cmp_eq_u32_e64 s[40:41], v55, v14                        // 00000000A5F8: D0CA0028 00021D37
	s_nop 1                                                    // 00000000A600: BF800001
	v_max_f32_e32 v16, v50, v14                                // 00000000A604: 16201D32
	v_sub_f32_e32 v51, v14, v16                                // 00000000A608: 0466210E
	v_cndmask_b32_e64 v51, v51, 0, s[40:41]                    // 00000000A60C: D1000033 00A10133
	v_mov_b32_e32 v14, v16                                     // 00000000A614: 7E1C0310
	v_mul_f32_e32 v53, s64, v16                                // 00000000A618: 0A6A2040
	v_mul_f32_e32 v51, s64, v51                                // 00000000A61C: 0A666640
	v_exp_f32_e32 v51, v51                                     // 00000000A620: 7E664133
	buffer_load_dwordx4 a[128:131], v192, s[20:23], 0 offen    // 00000000A624: E05C1000 808580C0
	v_fma_f32 v112, v112, s64, -v53                            // 00000000A62C: D1CB0070 84D48170
	v_fma_f32 v113, v113, s64, -v53                            // 00000000A634: D1CB0071 84D48171
	v_fma_f32 v114, v114, s64, -v53                            // 00000000A63C: D1CB0072 84D48172
	v_fma_f32 v115, v115, s64, -v53                            // 00000000A644: D1CB0073 84D48173
	v_fma_f32 v116, v116, s64, -v53                            // 00000000A64C: D1CB0074 84D48174
	v_fma_f32 v117, v117, s64, -v53                            // 00000000A654: D1CB0075 84D48175
	v_fma_f32 v118, v118, s64, -v53                            // 00000000A65C: D1CB0076 84D48176
	v_fma_f32 v119, v119, s64, -v53                            // 00000000A664: D1CB0077 84D48177
	v_fma_f32 v120, v120, s64, -v53                            // 00000000A66C: D1CB0078 84D48178
	v_fma_f32 v121, v121, s64, -v53                            // 00000000A674: D1CB0079 84D48179
	v_fma_f32 v122, v122, s64, -v53                            // 00000000A67C: D1CB007A 84D4817A
	v_fma_f32 v123, v123, s64, -v53                            // 00000000A684: D1CB007B 84D4817B
	v_fma_f32 v124, v124, s64, -v53                            // 00000000A68C: D1CB007C 84D4817C
	v_fma_f32 v125, v125, s64, -v53                            // 00000000A694: D1CB007D 84D4817D
	v_fma_f32 v126, v126, s64, -v53                            // 00000000A69C: D1CB007E 84D4817E
	v_fma_f32 v127, v127, s64, -v53                            // 00000000A6A4: D1CB007F 84D4817F
	v_exp_f32_e32 v112, v112                                   // 00000000A6AC: 7EE04170
	v_exp_f32_e32 v113, v113                                   // 00000000A6B0: 7EE24171
	v_exp_f32_e32 v114, v114                                   // 00000000A6B4: 7EE44172
	v_exp_f32_e32 v115, v115                                   // 00000000A6B8: 7EE64173
	v_exp_f32_e32 v116, v116                                   // 00000000A6BC: 7EE84174
	v_exp_f32_e32 v117, v117                                   // 00000000A6C0: 7EEA4175
	v_exp_f32_e32 v118, v118                                   // 00000000A6C4: 7EEC4176
	v_exp_f32_e32 v119, v119                                   // 00000000A6C8: 7EEE4177
	v_exp_f32_e32 v120, v120                                   // 00000000A6CC: 7EF04178
	v_exp_f32_e32 v121, v121                                   // 00000000A6D0: 7EF24179
	v_exp_f32_e32 v122, v122                                   // 00000000A6D4: 7EF4417A
	v_exp_f32_e32 v123, v123                                   // 00000000A6D8: 7EF6417B
	v_exp_f32_e32 v124, v124                                   // 00000000A6DC: 7EF8417C
	v_exp_f32_e32 v125, v125                                   // 00000000A6E0: 7EFA417D
	v_exp_f32_e32 v126, v126                                   // 00000000A6E4: 7EFC417E
	v_exp_f32_e32 v127, v127                                   // 00000000A6E8: 7EFE417F
	buffer_load_dwordx4 a[132:135], v193, s[20:23], 0 offen    // 00000000A6EC: E05C1000 808584C1
	v_mul_f32_e32 v43, v51, v43                                // 00000000A6F4: 0A565733
	v_mov_b32_e32 v45, v112                                    // 00000000A6F8: 7E5A0370
	v_add_f32_e32 v45, v113, v45                               // 00000000A6FC: 025A5B71
	v_add_f32_e32 v45, v114, v45                               // 00000000A700: 025A5B72
	v_add_f32_e32 v45, v115, v45                               // 00000000A704: 025A5B73
	v_add_f32_e32 v45, v116, v45                               // 00000000A708: 025A5B74
	v_add_f32_e32 v45, v117, v45                               // 00000000A70C: 025A5B75
	v_add_f32_e32 v45, v118, v45                               // 00000000A710: 025A5B76
	v_add_f32_e32 v45, v119, v45                               // 00000000A714: 025A5B77
	v_add_f32_e32 v45, v120, v45                               // 00000000A718: 025A5B78
	v_add_f32_e32 v45, v121, v45                               // 00000000A71C: 025A5B79
	v_add_f32_e32 v45, v122, v45                               // 00000000A720: 025A5B7A
	v_add_f32_e32 v45, v123, v45                               // 00000000A724: 025A5B7B
	v_add_f32_e32 v45, v124, v45                               // 00000000A728: 025A5B7C
	v_add_f32_e32 v45, v125, v45                               // 00000000A72C: 025A5B7D
	v_add_f32_e32 v45, v126, v45                               // 00000000A730: 025A5B7E
	v_add_f32_e32 v45, v127, v45                               // 00000000A734: 025A5B7F
	v_add_f32_e32 v43, v45, v43                                // 00000000A738: 0256572D
	buffer_load_dwordx4 a[136:139], v194, s[20:23], 0 offen    // 00000000A73C: E05C1000 808588C2
	v_cvt_pkrtz_f16_f32 v39, v112, v113                        // 00000000A744: D2960027 0002E370
	v_mov_b32_e32 v112, v39                                    // 00000000A74C: 7EE00327
	v_cvt_pkrtz_f16_f32 v39, v114, v115                        // 00000000A750: D2960027 0002E772
	v_mov_b32_e32 v113, v39                                    // 00000000A758: 7EE20327
	v_cvt_pkrtz_f16_f32 v39, v116, v117                        // 00000000A75C: D2960027 0002EB74
	v_mov_b32_e32 v114, v39                                    // 00000000A764: 7EE40327
	v_cvt_pkrtz_f16_f32 v39, v118, v119                        // 00000000A768: D2960027 0002EF76
	v_mov_b32_e32 v115, v39                                    // 00000000A770: 7EE60327
	v_cvt_pkrtz_f16_f32 v39, v120, v121                        // 00000000A774: D2960027 0002F378
	v_mov_b32_e32 v116, v39                                    // 00000000A77C: 7EE80327
	v_cvt_pkrtz_f16_f32 v39, v122, v123                        // 00000000A780: D2960027 0002F77A
	v_mov_b32_e32 v117, v39                                    // 00000000A788: 7EEA0327
	v_cvt_pkrtz_f16_f32 v39, v124, v125                        // 00000000A78C: D2960027 0002FB7C
	v_mov_b32_e32 v118, v39                                    // 00000000A794: 7EEC0327
	v_cvt_pkrtz_f16_f32 v39, v126, v127                        // 00000000A798: D2960027 0002FF7E
	v_mov_b32_e32 v119, v39                                    // 00000000A7A0: 7EEE0327
	buffer_load_dwordx4 a[140:143], v195, s[20:23], 0 offen    // 00000000A7A4: E05C1000 80858CC3
	buffer_load_dwordx4 a[144:147], v196, s[20:23], 0 offen    // 00000000A7AC: E05C1000 808590C4
	ds_write_b64 v13, v[112:113] offset:4096                   // 00000000A7B4: D89A1000 0000700D
	ds_write_b64 v13, v[114:115] offset:6144                   // 00000000A7BC: D89A1800 0000720D
	ds_write_b64 v13, v[116:117] offset:8192                   // 00000000A7C4: D89A2000 0000740D
	ds_write_b64 v13, v[118:119] offset:10240                  // 00000000A7CC: D89A2800 0000760D
	buffer_load_dwordx4 a[148:151], v197, s[20:23], 0 offen    // 00000000A7D4: E05C1000 808594C5
	s_waitcnt lgkmcnt(0)                                       // 00000000A7DC: BF8CC07F
	s_barrier                                                  // 00000000A7E0: BF8A0000
	ds_read_b64 v[112:113], v12 offset:4096                    // 00000000A7E4: D8EC1000 7000000C
	ds_read_b64 v[114:115], v12 offset:4224                    // 00000000A7EC: D8EC1080 7200000C
	ds_read_b64 v[116:117], v12 offset:5120                    // 00000000A7F4: D8EC1400 7400000C
	ds_read_b64 v[118:119], v12 offset:5248                    // 00000000A7FC: D8EC1480 7600000C
	ds_read_b64 v[120:121], v12 offset:6144                    // 00000000A804: D8EC1800 7800000C
	ds_read_b64 v[122:123], v12 offset:6272                    // 00000000A80C: D8EC1880 7A00000C
	ds_read_b64 v[124:125], v12 offset:7168                    // 00000000A814: D8EC1C00 7C00000C
	ds_read_b64 v[126:127], v12 offset:7296                    // 00000000A81C: D8EC1C80 7E00000C
	ds_read_b64 v[128:129], v12 offset:8192                    // 00000000A824: D8EC2000 8000000C
	ds_read_b64 v[130:131], v12 offset:8320                    // 00000000A82C: D8EC2080 8200000C
	ds_read_b64 v[132:133], v12 offset:9216                    // 00000000A834: D8EC2400 8400000C
	ds_read_b64 v[134:135], v12 offset:9344                    // 00000000A83C: D8EC2480 8600000C
	ds_read_b64 v[136:137], v12 offset:10240                   // 00000000A844: D8EC2800 8800000C
	ds_read_b64 v[138:139], v12 offset:10368                   // 00000000A84C: D8EC2880 8A00000C
	ds_read_b64 v[140:141], v12 offset:11264                   // 00000000A854: D8EC2C00 8C00000C
	ds_read_b64 v[142:143], v12 offset:11392                   // 00000000A85C: D8EC2C80 8E00000C
	buffer_load_dwordx4 a[152:155], v198, s[20:23], 0 offen    // 00000000A864: E05C1000 808598C6
	buffer_load_dwordx4 a[156:159], v199, s[20:23], 0 offen    // 00000000A86C: E05C1000 80859CC7
	s_waitcnt lgkmcnt(0)                                       // 00000000A874: BF8CC07F
	s_nop 8                                                    // 00000000A878: BF800008
	v_mov_b32_e32 v50, v144                                    // 00000000A87C: 7E640390
	v_max3_f32 v50, v144, v145, v50                            // 00000000A880: D1D30032 04CB2390
	v_max3_f32 v50, v146, v147, v50                            // 00000000A888: D1D30032 04CB2792
	v_max3_f32 v50, v148, v149, v50                            // 00000000A890: D1D30032 04CB2B94
	v_max3_f32 v50, v150, v151, v50                            // 00000000A898: D1D30032 04CB2F96
	v_max3_f32 v50, v152, v153, v50                            // 00000000A8A0: D1D30032 04CB3398
	v_max3_f32 v50, v154, v155, v50                            // 00000000A8A8: D1D30032 04CB379A
	v_max3_f32 v50, v156, v157, v50                            // 00000000A8B0: D1D30032 04CB3B9C
	v_max3_f32 v50, v158, v159, v50                            // 00000000A8B8: D1D30032 04CB3F9E
	ds_write_b32 v11, v50                                      // 00000000A8C0: D81A0000 0000320B
	s_waitcnt lgkmcnt(0)                                       // 00000000A8C8: BF8CC07F
	s_barrier                                                  // 00000000A8CC: BF8A0000
	ds_read_b32 v64, v10                                       // 00000000A8D0: D86C0000 4000000A
	ds_read_b32 v65, v10 offset:64                             // 00000000A8D8: D86C0040 4100000A
	ds_read_b32 v66, v10 offset:128                            // 00000000A8E0: D86C0080 4200000A
	ds_read_b32 v67, v10 offset:192                            // 00000000A8E8: D86C00C0 4300000A
	ds_read_b32 v68, v10 offset:256                            // 00000000A8F0: D86C0100 4400000A
	ds_read_b32 v69, v10 offset:320                            // 00000000A8F8: D86C0140 4500000A
	ds_read_b32 v70, v10 offset:384                            // 00000000A900: D86C0180 4600000A
	ds_read_b32 v71, v10 offset:448                            // 00000000A908: D86C01C0 4700000A
	ds_read_b32 v72, v10 offset:512                            // 00000000A910: D86C0200 4800000A
	ds_read_b32 v73, v10 offset:576                            // 00000000A918: D86C0240 4900000A
	ds_read_b32 v74, v10 offset:640                            // 00000000A920: D86C0280 4A00000A
	ds_read_b32 v75, v10 offset:704                            // 00000000A928: D86C02C0 4B00000A
	ds_read_b32 v76, v10 offset:768                            // 00000000A930: D86C0300 4C00000A
	ds_read_b32 v77, v10 offset:832                            // 00000000A938: D86C0340 4D00000A
	ds_read_b32 v78, v10 offset:896                            // 00000000A940: D86C0380 4E00000A
	ds_read_b32 v79, v10 offset:960                            // 00000000A948: D86C03C0 4F00000A
	s_waitcnt lgkmcnt(0)                                       // 00000000A950: BF8CC07F
	v_max3_f32 v50, v64, v65, v50                              // 00000000A954: D1D30032 04CA8340
	v_max3_f32 v50, v66, v67, v50                              // 00000000A95C: D1D30032 04CA8742
	v_max3_f32 v50, v68, v69, v50                              // 00000000A964: D1D30032 04CA8B44
	v_max3_f32 v50, v70, v71, v50                              // 00000000A96C: D1D30032 04CA8F46
	v_max3_f32 v50, v72, v73, v50                              // 00000000A974: D1D30032 04CA9348
	v_max3_f32 v50, v74, v75, v50                              // 00000000A97C: D1D30032 04CA974A
	v_max3_f32 v50, v76, v77, v50                              // 00000000A984: D1D30032 04CA9B4C
	v_max3_f32 v50, v78, v79, v50                              // 00000000A98C: D1D30032 04CA9F4E
	v_cmp_eq_u32_e64 s[40:41], v55, v15                        // 00000000A994: D0CA0028 00021F37
	s_nop 1                                                    // 00000000A99C: BF800001
	v_max_f32_e32 v16, v50, v15                                // 00000000A9A0: 16201F32
	v_sub_f32_e32 v52, v15, v16                                // 00000000A9A4: 0468210F
	v_cndmask_b32_e64 v52, v52, 0, s[40:41]                    // 00000000A9A8: D1000034 00A10134
	v_mov_b32_e32 v15, v16                                     // 00000000A9B0: 7E1E0310
	v_mul_f32_e32 v53, s64, v16                                // 00000000A9B4: 0A6A2040
	v_mul_f32_e32 v52, s64, v52                                // 00000000A9B8: 0A686840
	v_exp_f32_e32 v52, v52                                     // 00000000A9BC: 7E684134
	v_fma_f32 v144, v144, s64, -v53                            // 00000000A9C0: D1CB0090 84D48190
	v_fma_f32 v145, v145, s64, -v53                            // 00000000A9C8: D1CB0091 84D48191
	v_fma_f32 v146, v146, s64, -v53                            // 00000000A9D0: D1CB0092 84D48192
	v_fma_f32 v147, v147, s64, -v53                            // 00000000A9D8: D1CB0093 84D48193
	v_fma_f32 v148, v148, s64, -v53                            // 00000000A9E0: D1CB0094 84D48194
	v_fma_f32 v149, v149, s64, -v53                            // 00000000A9E8: D1CB0095 84D48195
	v_fma_f32 v150, v150, s64, -v53                            // 00000000A9F0: D1CB0096 84D48196
	v_fma_f32 v151, v151, s64, -v53                            // 00000000A9F8: D1CB0097 84D48197
	v_fma_f32 v152, v152, s64, -v53                            // 00000000AA00: D1CB0098 84D48198
	v_fma_f32 v153, v153, s64, -v53                            // 00000000AA08: D1CB0099 84D48199
	v_fma_f32 v154, v154, s64, -v53                            // 00000000AA10: D1CB009A 84D4819A
	v_fma_f32 v155, v155, s64, -v53                            // 00000000AA18: D1CB009B 84D4819B
	v_fma_f32 v156, v156, s64, -v53                            // 00000000AA20: D1CB009C 84D4819C
	v_fma_f32 v157, v157, s64, -v53                            // 00000000AA28: D1CB009D 84D4819D
	v_fma_f32 v158, v158, s64, -v53                            // 00000000AA30: D1CB009E 84D4819E
	v_fma_f32 v159, v159, s64, -v53                            // 00000000AA38: D1CB009F 84D4819F
	v_exp_f32_e32 v144, v144                                   // 00000000AA40: 7F204190
	v_exp_f32_e32 v145, v145                                   // 00000000AA44: 7F224191
	v_exp_f32_e32 v146, v146                                   // 00000000AA48: 7F244192
	v_exp_f32_e32 v147, v147                                   // 00000000AA4C: 7F264193
	v_exp_f32_e32 v148, v148                                   // 00000000AA50: 7F284194
	v_exp_f32_e32 v149, v149                                   // 00000000AA54: 7F2A4195
	v_exp_f32_e32 v150, v150                                   // 00000000AA58: 7F2C4196
	v_exp_f32_e32 v151, v151                                   // 00000000AA5C: 7F2E4197
	v_exp_f32_e32 v152, v152                                   // 00000000AA60: 7F304198
	v_exp_f32_e32 v153, v153                                   // 00000000AA64: 7F324199
	v_exp_f32_e32 v154, v154                                   // 00000000AA68: 7F34419A
	v_exp_f32_e32 v155, v155                                   // 00000000AA6C: 7F36419B
	v_exp_f32_e32 v156, v156                                   // 00000000AA70: 7F38419C
	v_exp_f32_e32 v157, v157                                   // 00000000AA74: 7F3A419D
	v_exp_f32_e32 v158, v158                                   // 00000000AA78: 7F3C419E
	v_exp_f32_e32 v159, v159                                   // 00000000AA7C: 7F3E419F
	v_mul_f32_e32 v44, v52, v44                                // 00000000AA80: 0A585934
	v_mov_b32_e32 v45, v144                                    // 00000000AA84: 7E5A0390
	v_add_f32_e32 v45, v145, v45                               // 00000000AA88: 025A5B91
	v_add_f32_e32 v45, v146, v45                               // 00000000AA8C: 025A5B92
	v_add_f32_e32 v45, v147, v45                               // 00000000AA90: 025A5B93
	v_add_f32_e32 v45, v148, v45                               // 00000000AA94: 025A5B94
	v_add_f32_e32 v45, v149, v45                               // 00000000AA98: 025A5B95
	v_add_f32_e32 v45, v150, v45                               // 00000000AA9C: 025A5B96
	v_add_f32_e32 v45, v151, v45                               // 00000000AAA0: 025A5B97
	v_add_f32_e32 v45, v152, v45                               // 00000000AAA4: 025A5B98
	v_add_f32_e32 v45, v153, v45                               // 00000000AAA8: 025A5B99
	v_add_f32_e32 v45, v154, v45                               // 00000000AAAC: 025A5B9A
	v_add_f32_e32 v45, v155, v45                               // 00000000AAB0: 025A5B9B
	v_add_f32_e32 v45, v156, v45                               // 00000000AAB4: 025A5B9C
	v_add_f32_e32 v45, v157, v45                               // 00000000AAB8: 025A5B9D
	v_add_f32_e32 v45, v158, v45                               // 00000000AABC: 025A5B9E
	v_add_f32_e32 v45, v159, v45                               // 00000000AAC0: 025A5B9F
	v_add_f32_e32 v44, v45, v44                                // 00000000AAC4: 0258592D
	v_cvt_pkrtz_f16_f32 v39, v144, v145                        // 00000000AAC8: D2960027 00032390
	v_mov_b32_e32 v144, v39                                    // 00000000AAD0: 7F200327
	v_cvt_pkrtz_f16_f32 v39, v146, v147                        // 00000000AAD4: D2960027 00032792
	v_mov_b32_e32 v145, v39                                    // 00000000AADC: 7F220327
	v_cvt_pkrtz_f16_f32 v39, v148, v149                        // 00000000AAE0: D2960027 00032B94
	v_mov_b32_e32 v146, v39                                    // 00000000AAE8: 7F240327
	v_cvt_pkrtz_f16_f32 v39, v150, v151                        // 00000000AAEC: D2960027 00032F96
	v_mov_b32_e32 v147, v39                                    // 00000000AAF4: 7F260327
	v_cvt_pkrtz_f16_f32 v39, v152, v153                        // 00000000AAF8: D2960027 00033398
	v_mov_b32_e32 v148, v39                                    // 00000000AB00: 7F280327
	v_cvt_pkrtz_f16_f32 v39, v154, v155                        // 00000000AB04: D2960027 0003379A
	v_mov_b32_e32 v149, v39                                    // 00000000AB0C: 7F2A0327
	v_cvt_pkrtz_f16_f32 v39, v156, v157                        // 00000000AB10: D2960027 00033B9C
	v_mov_b32_e32 v150, v39                                    // 00000000AB18: 7F2C0327
	v_cvt_pkrtz_f16_f32 v39, v158, v159                        // 00000000AB1C: D2960027 00033F9E
	v_mov_b32_e32 v151, v39                                    // 00000000AB24: 7F2E0327
	ds_write_b64 v13, v[144:145] offset:4096                   // 00000000AB28: D89A1000 0000900D
	ds_write_b64 v13, v[146:147] offset:6144                   // 00000000AB30: D89A1800 0000920D
	ds_write_b64 v13, v[148:149] offset:8192                   // 00000000AB38: D89A2000 0000940D
	ds_write_b64 v13, v[150:151] offset:10240                  // 00000000AB40: D89A2800 0000960D
	s_waitcnt lgkmcnt(0)                                       // 00000000AB48: BF8CC07F
	s_barrier                                                  // 00000000AB4C: BF8A0000
	ds_read_b64 v[144:145], v12 offset:4096                    // 00000000AB50: D8EC1000 9000000C
	ds_read_b64 v[146:147], v12 offset:4224                    // 00000000AB58: D8EC1080 9200000C
	ds_read_b64 v[148:149], v12 offset:5120                    // 00000000AB60: D8EC1400 9400000C
	ds_read_b64 v[150:151], v12 offset:5248                    // 00000000AB68: D8EC1480 9600000C
	ds_read_b64 v[152:153], v12 offset:6144                    // 00000000AB70: D8EC1800 9800000C
	ds_read_b64 v[154:155], v12 offset:6272                    // 00000000AB78: D8EC1880 9A00000C
	ds_read_b64 v[156:157], v12 offset:7168                    // 00000000AB80: D8EC1C00 9C00000C
	ds_read_b64 v[158:159], v12 offset:7296                    // 00000000AB88: D8EC1C80 9E00000C
	ds_read_b64 v[160:161], v12 offset:8192                    // 00000000AB90: D8EC2000 A000000C
	ds_read_b64 v[162:163], v12 offset:8320                    // 00000000AB98: D8EC2080 A200000C
	ds_read_b64 v[164:165], v12 offset:9216                    // 00000000ABA0: D8EC2400 A400000C
	ds_read_b64 v[166:167], v12 offset:9344                    // 00000000ABA8: D8EC2480 A600000C
	ds_read_b64 v[168:169], v12 offset:10240                   // 00000000ABB0: D8EC2800 A800000C
	ds_read_b64 v[170:171], v12 offset:10368                   // 00000000ABB8: D8EC2880 AA00000C
	ds_read_b64 v[172:173], v12 offset:11264                   // 00000000ABC0: D8EC2C00 AC00000C
	ds_read_b64 v[174:175], v12 offset:11392                   // 00000000ABC8: D8EC2C80 AE00000C
	s_waitcnt lgkmcnt(0)                                       // 00000000ABD0: BF8CC07F
	v_mul_f32_e32 v176, v51, v176                              // 00000000ABD4: 0B616133
	v_mul_f32_e32 v177, v51, v177                              // 00000000ABD8: 0B636333
	v_mul_f32_e32 v178, v51, v178                              // 00000000ABDC: 0B656533
	v_mul_f32_e32 v179, v51, v179                              // 00000000ABE0: 0B676733
	v_mul_f32_e32 v180, v51, v180                              // 00000000ABE4: 0B696933
	v_mul_f32_e32 v181, v51, v181                              // 00000000ABE8: 0B6B6B33
	v_mul_f32_e32 v182, v51, v182                              // 00000000ABEC: 0B6D6D33
	v_mul_f32_e32 v183, v51, v183                              // 00000000ABF0: 0B6F6F33
	v_mul_f32_e32 v184, v52, v184                              // 00000000ABF4: 0B717134
	v_mul_f32_e32 v185, v52, v185                              // 00000000ABF8: 0B737334
	v_mul_f32_e32 v186, v52, v186                              // 00000000ABFC: 0B757534
	v_mul_f32_e32 v187, v52, v187                              // 00000000AC00: 0B777734
	v_mul_f32_e32 v188, v52, v188                              // 00000000AC04: 0B797934
	v_mul_f32_e32 v189, v52, v189                              // 00000000AC08: 0B7B7B34
	v_mul_f32_e32 v190, v52, v190                              // 00000000AC0C: 0B7D7D34
	v_mul_f32_e32 v191, v52, v191                              // 00000000AC10: 0B7F7F34
	s_waitcnt vmcnt(24)                                        // 00000000AC14: BF8C4F78
	v_mfma_f32_16x16x16_f16 v[176:179], a[192:193], v[112:113], v[176:179]// 00000000AC18: D3CD00B0 0EC2E1C0
	v_mfma_f32_16x16x16_f16 v[176:179], a[194:195], v[114:115], v[176:179]// 00000000AC20: D3CD00B0 0EC2E5C2
	buffer_load_dwordx4 a[160:163], v192, s[20:23], 0 offen offset:1024// 00000000AC28: E05C1400 8085A0C0
	v_mfma_f32_16x16x16_f16 v[176:179], a[196:197], v[116:117], v[176:179]// 00000000AC30: D3CD00B0 0EC2E9C4
	v_mfma_f32_16x16x16_f16 v[176:179], a[198:199], v[118:119], v[176:179]// 00000000AC38: D3CD00B0 0EC2EDC6
	v_mfma_f32_16x16x16_f16 v[176:179], a[200:201], v[120:121], v[176:179]// 00000000AC40: D3CD00B0 0EC2F1C8
	v_mfma_f32_16x16x16_f16 v[176:179], a[202:203], v[122:123], v[176:179]// 00000000AC48: D3CD00B0 0EC2F5CA
	buffer_load_dwordx4 a[164:167], v193, s[20:23], 0 offen offset:1024// 00000000AC50: E05C1400 8085A4C1
	v_mfma_f32_16x16x16_f16 v[176:179], a[204:205], v[124:125], v[176:179]// 00000000AC58: D3CD00B0 0EC2F9CC
	v_mfma_f32_16x16x16_f16 v[176:179], a[206:207], v[126:127], v[176:179]// 00000000AC60: D3CD00B0 0EC2FDCE
	v_mfma_f32_16x16x16_f16 v[176:179], a[208:209], v[128:129], v[176:179]// 00000000AC68: D3CD00B0 0EC301D0
	v_mfma_f32_16x16x16_f16 v[176:179], a[210:211], v[130:131], v[176:179]// 00000000AC70: D3CD00B0 0EC305D2
	buffer_load_dwordx4 a[168:171], v194, s[20:23], 0 offen offset:1024// 00000000AC78: E05C1400 8085A8C2
	v_mfma_f32_16x16x16_f16 v[176:179], a[212:213], v[132:133], v[176:179]// 00000000AC80: D3CD00B0 0EC309D4
	v_mfma_f32_16x16x16_f16 v[176:179], a[214:215], v[134:135], v[176:179]// 00000000AC88: D3CD00B0 0EC30DD6
	v_mfma_f32_16x16x16_f16 v[176:179], a[216:217], v[136:137], v[176:179]// 00000000AC90: D3CD00B0 0EC311D8
	v_mfma_f32_16x16x16_f16 v[176:179], a[218:219], v[138:139], v[176:179]// 00000000AC98: D3CD00B0 0EC315DA
	buffer_load_dwordx4 a[172:175], v195, s[20:23], 0 offen offset:1024// 00000000ACA0: E05C1400 8085ACC3
	v_mfma_f32_16x16x16_f16 v[176:179], a[220:221], v[140:141], v[176:179]// 00000000ACA8: D3CD00B0 0EC319DC
	v_mfma_f32_16x16x16_f16 v[176:179], a[222:223], v[142:143], v[176:179]// 00000000ACB0: D3CD00B0 0EC31DDE
	v_mfma_f32_16x16x16_f16 v[180:183], a[224:225], v[112:113], v[180:183]// 00000000ACB8: D3CD00B4 0ED2E1E0
	v_mfma_f32_16x16x16_f16 v[180:183], a[226:227], v[114:115], v[180:183]// 00000000ACC0: D3CD00B4 0ED2E5E2
	buffer_load_dwordx4 a[176:179], v196, s[20:23], 0 offen offset:1024// 00000000ACC8: E05C1400 8085B0C4
	v_mfma_f32_16x16x16_f16 v[180:183], a[228:229], v[116:117], v[180:183]// 00000000ACD0: D3CD00B4 0ED2E9E4
	v_mfma_f32_16x16x16_f16 v[180:183], a[230:231], v[118:119], v[180:183]// 00000000ACD8: D3CD00B4 0ED2EDE6
	v_mfma_f32_16x16x16_f16 v[180:183], a[232:233], v[120:121], v[180:183]// 00000000ACE0: D3CD00B4 0ED2F1E8
	v_mfma_f32_16x16x16_f16 v[180:183], a[234:235], v[122:123], v[180:183]// 00000000ACE8: D3CD00B4 0ED2F5EA
	buffer_load_dwordx4 a[180:183], v197, s[20:23], 0 offen offset:1024// 00000000ACF0: E05C1400 8085B4C5
	v_mfma_f32_16x16x16_f16 v[180:183], a[236:237], v[124:125], v[180:183]// 00000000ACF8: D3CD00B4 0ED2F9EC
	v_mfma_f32_16x16x16_f16 v[180:183], a[238:239], v[126:127], v[180:183]// 00000000AD00: D3CD00B4 0ED2FDEE
	v_mfma_f32_16x16x16_f16 v[180:183], a[240:241], v[128:129], v[180:183]// 00000000AD08: D3CD00B4 0ED301F0
	v_mfma_f32_16x16x16_f16 v[180:183], a[242:243], v[130:131], v[180:183]// 00000000AD10: D3CD00B4 0ED305F2
	buffer_load_dwordx4 a[184:187], v198, s[20:23], 0 offen offset:1024// 00000000AD18: E05C1400 8085B8C6
	v_mfma_f32_16x16x16_f16 v[180:183], a[244:245], v[132:133], v[180:183]// 00000000AD20: D3CD00B4 0ED309F4
	v_mfma_f32_16x16x16_f16 v[180:183], a[246:247], v[134:135], v[180:183]// 00000000AD28: D3CD00B4 0ED30DF6
	v_mfma_f32_16x16x16_f16 v[180:183], a[248:249], v[136:137], v[180:183]// 00000000AD30: D3CD00B4 0ED311F8
	v_mfma_f32_16x16x16_f16 v[180:183], a[250:251], v[138:139], v[180:183]// 00000000AD38: D3CD00B4 0ED315FA
	buffer_load_dwordx4 a[188:191], v199, s[20:23], 0 offen offset:1024// 00000000AD40: E05C1400 8085BCC7
	v_mfma_f32_16x16x16_f16 v[180:183], a[252:253], v[140:141], v[180:183]// 00000000AD48: D3CD00B4 0ED319FC
	v_mfma_f32_16x16x16_f16 v[180:183], a[254:255], v[142:143], v[180:183]// 00000000AD50: D3CD00B4 0ED31DFE
	v_mfma_f32_16x16x16_f16 v[184:187], a[192:193], v[144:145], v[184:187]// 00000000AD58: D3CD00B8 0EE321C0
	v_mfma_f32_16x16x16_f16 v[184:187], a[194:195], v[146:147], v[184:187]// 00000000AD60: D3CD00B8 0EE325C2
	v_mfma_f32_16x16x16_f16 v[184:187], a[196:197], v[148:149], v[184:187]// 00000000AD68: D3CD00B8 0EE329C4
	v_mfma_f32_16x16x16_f16 v[184:187], a[198:199], v[150:151], v[184:187]// 00000000AD70: D3CD00B8 0EE32DC6
	v_mfma_f32_16x16x16_f16 v[184:187], a[200:201], v[152:153], v[184:187]// 00000000AD78: D3CD00B8 0EE331C8
	v_mfma_f32_16x16x16_f16 v[184:187], a[202:203], v[154:155], v[184:187]// 00000000AD80: D3CD00B8 0EE335CA
	v_mfma_f32_16x16x16_f16 v[184:187], a[204:205], v[156:157], v[184:187]// 00000000AD88: D3CD00B8 0EE339CC
	v_mfma_f32_16x16x16_f16 v[184:187], a[206:207], v[158:159], v[184:187]// 00000000AD90: D3CD00B8 0EE33DCE
	v_mfma_f32_16x16x16_f16 v[184:187], a[208:209], v[160:161], v[184:187]// 00000000AD98: D3CD00B8 0EE341D0
	v_mfma_f32_16x16x16_f16 v[184:187], a[210:211], v[162:163], v[184:187]// 00000000ADA0: D3CD00B8 0EE345D2
	v_mfma_f32_16x16x16_f16 v[184:187], a[212:213], v[164:165], v[184:187]// 00000000ADA8: D3CD00B8 0EE349D4
	v_mfma_f32_16x16x16_f16 v[184:187], a[214:215], v[166:167], v[184:187]// 00000000ADB0: D3CD00B8 0EE34DD6
	v_mfma_f32_16x16x16_f16 v[184:187], a[216:217], v[168:169], v[184:187]// 00000000ADB8: D3CD00B8 0EE351D8
	v_mfma_f32_16x16x16_f16 v[184:187], a[218:219], v[170:171], v[184:187]// 00000000ADC0: D3CD00B8 0EE355DA
	v_mfma_f32_16x16x16_f16 v[184:187], a[220:221], v[172:173], v[184:187]// 00000000ADC8: D3CD00B8 0EE359DC
	v_mfma_f32_16x16x16_f16 v[184:187], a[222:223], v[174:175], v[184:187]// 00000000ADD0: D3CD00B8 0EE35DDE
	v_mfma_f32_16x16x16_f16 v[188:191], a[224:225], v[144:145], v[188:191]// 00000000ADD8: D3CD00BC 0EF321E0
	v_mfma_f32_16x16x16_f16 v[188:191], a[226:227], v[146:147], v[188:191]// 00000000ADE0: D3CD00BC 0EF325E2
	v_mfma_f32_16x16x16_f16 v[188:191], a[228:229], v[148:149], v[188:191]// 00000000ADE8: D3CD00BC 0EF329E4
	v_mfma_f32_16x16x16_f16 v[188:191], a[230:231], v[150:151], v[188:191]// 00000000ADF0: D3CD00BC 0EF32DE6
	v_mfma_f32_16x16x16_f16 v[188:191], a[232:233], v[152:153], v[188:191]// 00000000ADF8: D3CD00BC 0EF331E8
	v_mfma_f32_16x16x16_f16 v[188:191], a[234:235], v[154:155], v[188:191]// 00000000AE00: D3CD00BC 0EF335EA
	v_mfma_f32_16x16x16_f16 v[188:191], a[236:237], v[156:157], v[188:191]// 00000000AE08: D3CD00BC 0EF339EC
	v_mfma_f32_16x16x16_f16 v[188:191], a[238:239], v[158:159], v[188:191]// 00000000AE10: D3CD00BC 0EF33DEE
	v_mfma_f32_16x16x16_f16 v[188:191], a[240:241], v[160:161], v[188:191]// 00000000AE18: D3CD00BC 0EF341F0
	v_mfma_f32_16x16x16_f16 v[188:191], a[242:243], v[162:163], v[188:191]// 00000000AE20: D3CD00BC 0EF345F2
	v_mfma_f32_16x16x16_f16 v[188:191], a[244:245], v[164:165], v[188:191]// 00000000AE28: D3CD00BC 0EF349F4
	v_mfma_f32_16x16x16_f16 v[188:191], a[246:247], v[166:167], v[188:191]// 00000000AE30: D3CD00BC 0EF34DF6
	v_mfma_f32_16x16x16_f16 v[188:191], a[248:249], v[168:169], v[188:191]// 00000000AE38: D3CD00BC 0EF351F8
	v_mfma_f32_16x16x16_f16 v[188:191], a[250:251], v[170:171], v[188:191]// 00000000AE40: D3CD00BC 0EF355FA
	v_mfma_f32_16x16x16_f16 v[188:191], a[252:253], v[172:173], v[188:191]// 00000000AE48: D3CD00BC 0EF359FC
	v_mfma_f32_16x16x16_f16 v[188:191], a[254:255], v[174:175], v[188:191]// 00000000AE50: D3CD00BC 0EF35DFE
	s_lshr_b32 s60, s70, 4                                     // 00000000AE58: 8F3C8446
	s_add_u32 s60, 48, s60                                     // 00000000AE5C: 803C3CB0
	s_cmp_ge_u32 s60, s73                                      // 00000000AE60: BF09493C
	s_cselect_b32 s56, 0, s56                                  // 00000000AE64: 85383880
	v_mul_u32_u24_dpp v39, v18, v54 row_newbcast:0 row_mask:0xf bank_mask:0xf// 00000000AE68: 104E6CFA FF015012
	v_mul_u32_u24_dpp v40, v18, v54 row_newbcast:4 row_mask:0xf bank_mask:0xf// 00000000AE70: 10506CFA FF015412
	v_mul_u32_u24_dpp v41, v18, v54 row_newbcast:8 row_mask:0xf bank_mask:0xf// 00000000AE78: 10526CFA FF015812
	v_mul_u32_u24_dpp v42, v18, v54 row_newbcast:12 row_mask:0xf bank_mask:0xf// 00000000AE80: 10546CFA FF015C12
	v_add_u32_e32 v27, v39, v6                                 // 00000000AE88: 68360D27
	v_add_u32_e32 v28, v40, v6                                 // 00000000AE8C: 68380D28
	v_add_u32_e32 v29, v41, v6                                 // 00000000AE90: 683A0D29
	v_add_u32_e32 v30, v42, v6                                 // 00000000AE94: 683C0D2A
	v_mul_u32_u24_dpp v39, v18, v54 row_newbcast:1 row_mask:0xf bank_mask:0xf// 00000000AE98: 104E6CFA FF015112
	v_mul_u32_u24_dpp v40, v18, v54 row_newbcast:2 row_mask:0xf bank_mask:0xf// 00000000AEA0: 10506CFA FF015212
	v_mul_u32_u24_dpp v41, v18, v54 row_newbcast:5 row_mask:0xf bank_mask:0xf// 00000000AEA8: 10526CFA FF015512
	v_mul_u32_u24_dpp v42, v18, v54 row_newbcast:6 row_mask:0xf bank_mask:0xf// 00000000AEB0: 10546CFA FF015612
	v_add_u32_e32 v200, v39, v7                                // 00000000AEB8: 69900F27
	v_add_u32_e32 v201, v40, v7                                // 00000000AEBC: 69920F28
	v_add_u32_e32 v202, v41, v7                                // 00000000AEC0: 69940F29
	v_add_u32_e32 v203, v42, v7                                // 00000000AEC4: 69960F2A
	v_mul_u32_u24_dpp v39, v18, v54 row_newbcast:9 row_mask:0xf bank_mask:0xf// 00000000AEC8: 104E6CFA FF015912
	v_mul_u32_u24_dpp v40, v18, v54 row_newbcast:10 row_mask:0xf bank_mask:0xf// 00000000AED0: 10506CFA FF015A12
	v_mul_u32_u24_dpp v41, v18, v54 row_newbcast:13 row_mask:0xf bank_mask:0xf// 00000000AED8: 10526CFA FF015D12
	v_mul_u32_u24_dpp v42, v18, v54 row_newbcast:7 row_mask:0xf bank_mask:0xf// 00000000AEE0: 10546CFA FF015712
	v_add_u32_e32 v204, v39, v7                                // 00000000AEE8: 69980F27
	v_add_u32_e32 v205, v40, v7                                // 00000000AEEC: 699A0F28
	v_add_u32_e32 v206, v41, v7                                // 00000000AEF0: 699C0F29
	v_add_u32_e32 v207, v42, v7                                // 00000000AEF4: 699E0F2A
	v_add_u32_e32 v1, s56, v1                                  // 00000000AEF8: 68020238
	s_addk_i32 s70, 0x100                                      // 00000000AEFC: B7460100
	s_cmp_lt_i32 s70, s71                                      // 00000000AF00: BF044746
	s_cbranch_scc0 label_2344                                  // 00000000AF04: BF840001
	s_branch label_1CE5                                        // 00000000AF08: BF82F9A1

000000000000af0c <label_2344>:
	s_nop 0                                                    // 00000000AF0C: BF800000
	s_nop 0                                                    // 00000000AF10: BF800000
	s_branch label_29A6                                        // 00000000AF14: BF82065F

000000000000af18 <label_2347>:
	s_waitcnt vmcnt(16) lgkmcnt(0)                             // 00000000AF18: BF8C4070
	v_mfma_f32_16x16x16_f16 v[112:115], a[0:1], v[80:81], 0    // 00000000AF1C: D3CD0070 0A02A100
	buffer_load_dwordx4 a[64:67], v27, s[16:19], 0 offen       // 00000000AF24: E05C1000 8084401B
	v_mfma_f32_16x16x16_f16 v[112:115], a[2:3], v[82:83], v[112:115]// 00000000AF2C: D3CD0070 0DC2A502
	v_mfma_f32_16x16x16_f16 v[112:115], a[4:5], v[84:85], v[112:115]// 00000000AF34: D3CD0070 0DC2A904
	buffer_load_dword v17, v1, s[24:27], 0 offen               // 00000000AF3C: E0501000 80061101
	v_mfma_f32_16x16x16_f16 v[112:115], a[6:7], v[86:87], v[112:115]// 00000000AF44: D3CD0070 0DC2AD06
	v_mfma_f32_16x16x16_f16 v[112:115], a[8:9], v[88:89], v[112:115]// 00000000AF4C: D3CD0070 0DC2B108
	buffer_load_dwordx4 a[68:71], v27, s[16:19], 0 offen offset:1024// 00000000AF54: E05C1400 8084441B
	v_mfma_f32_16x16x16_f16 v[112:115], a[10:11], v[90:91], v[112:115]// 00000000AF5C: D3CD0070 0DC2B50A
	v_mfma_f32_16x16x16_f16 v[112:115], a[12:13], v[92:93], v[112:115]// 00000000AF64: D3CD0070 0DC2B90C
	v_mfma_f32_16x16x16_f16 v[112:115], a[14:15], v[94:95], v[112:115]// 00000000AF6C: D3CD0070 0DC2BD0E
	v_mfma_f32_16x16x16_f16 v[116:119], a[16:17], v[80:81], 0  // 00000000AF74: D3CD0074 0A02A110
	buffer_load_dwordx4 a[72:75], v27, s[16:19], 0 offen offset:2048// 00000000AF7C: E05C1800 8084481B
	v_mfma_f32_16x16x16_f16 v[116:119], a[18:19], v[82:83], v[116:119]// 00000000AF84: D3CD0074 0DD2A512
	v_mfma_f32_16x16x16_f16 v[116:119], a[20:21], v[84:85], v[116:119]// 00000000AF8C: D3CD0074 0DD2A914
	v_mfma_f32_16x16x16_f16 v[116:119], a[22:23], v[86:87], v[116:119]// 00000000AF94: D3CD0074 0DD2AD16
	v_mfma_f32_16x16x16_f16 v[116:119], a[24:25], v[88:89], v[116:119]// 00000000AF9C: D3CD0074 0DD2B118
	buffer_load_dwordx4 a[76:79], v27, s[16:19], 0 offen offset:3072// 00000000AFA4: E05C1C00 80844C1B
	v_mfma_f32_16x16x16_f16 v[116:119], a[26:27], v[90:91], v[116:119]// 00000000AFAC: D3CD0074 0DD2B51A
	v_mfma_f32_16x16x16_f16 v[116:119], a[28:29], v[92:93], v[116:119]// 00000000AFB4: D3CD0074 0DD2B91C
	v_mfma_f32_16x16x16_f16 v[116:119], a[30:31], v[94:95], v[116:119]// 00000000AFBC: D3CD0074 0DD2BD1E
	v_mfma_f32_16x16x16_f16 v[120:123], a[32:33], v[80:81], 0  // 00000000AFC4: D3CD0078 0A02A120
	buffer_load_dwordx4 a[80:83], v28, s[16:19], 0 offen       // 00000000AFCC: E05C1000 8084501C
	v_mfma_f32_16x16x16_f16 v[120:123], a[34:35], v[82:83], v[120:123]// 00000000AFD4: D3CD0078 0DE2A522
	v_mfma_f32_16x16x16_f16 v[120:123], a[36:37], v[84:85], v[120:123]// 00000000AFDC: D3CD0078 0DE2A924
	v_mfma_f32_16x16x16_f16 v[120:123], a[38:39], v[86:87], v[120:123]// 00000000AFE4: D3CD0078 0DE2AD26
	v_mfma_f32_16x16x16_f16 v[120:123], a[40:41], v[88:89], v[120:123]// 00000000AFEC: D3CD0078 0DE2B128
	buffer_load_dwordx4 a[84:87], v28, s[16:19], 0 offen offset:1024// 00000000AFF4: E05C1400 8084541C
	v_mfma_f32_16x16x16_f16 v[120:123], a[42:43], v[90:91], v[120:123]// 00000000AFFC: D3CD0078 0DE2B52A
	v_mfma_f32_16x16x16_f16 v[120:123], a[44:45], v[92:93], v[120:123]// 00000000B004: D3CD0078 0DE2B92C
	v_mfma_f32_16x16x16_f16 v[120:123], a[46:47], v[94:95], v[120:123]// 00000000B00C: D3CD0078 0DE2BD2E
	v_mfma_f32_16x16x16_f16 v[124:127], a[48:49], v[80:81], 0  // 00000000B014: D3CD007C 0A02A130
	buffer_load_dwordx4 a[88:91], v28, s[16:19], 0 offen offset:2048// 00000000B01C: E05C1800 8084581C
	v_mfma_f32_16x16x16_f16 v[124:127], a[50:51], v[82:83], v[124:127]// 00000000B024: D3CD007C 0DF2A532
	v_mfma_f32_16x16x16_f16 v[124:127], a[52:53], v[84:85], v[124:127]// 00000000B02C: D3CD007C 0DF2A934
	v_mfma_f32_16x16x16_f16 v[124:127], a[54:55], v[86:87], v[124:127]// 00000000B034: D3CD007C 0DF2AD36
	v_mfma_f32_16x16x16_f16 v[124:127], a[56:57], v[88:89], v[124:127]// 00000000B03C: D3CD007C 0DF2B138
	buffer_load_dwordx4 a[92:95], v28, s[16:19], 0 offen offset:3072// 00000000B044: E05C1C00 80845C1C
	v_mfma_f32_16x16x16_f16 v[124:127], a[58:59], v[90:91], v[124:127]// 00000000B04C: D3CD007C 0DF2B53A
	v_mfma_f32_16x16x16_f16 v[124:127], a[60:61], v[92:93], v[124:127]// 00000000B054: D3CD007C 0DF2B93C
	v_mfma_f32_16x16x16_f16 v[124:127], a[62:63], v[94:95], v[124:127]// 00000000B05C: D3CD007C 0DF2BD3E
	s_waitcnt vmcnt(16) lgkmcnt(0)                             // 00000000B064: BF8C4070
	v_mfma_f32_16x16x16_f16 v[144:147], a[0:1], v[96:97], 0    // 00000000B068: D3CD0090 0A02C100
	v_mfma_f32_16x16x16_f16 v[144:147], a[2:3], v[98:99], v[144:147]// 00000000B070: D3CD0090 0E42C502
	v_mfma_f32_16x16x16_f16 v[144:147], a[4:5], v[100:101], v[144:147]// 00000000B078: D3CD0090 0E42C904
	v_mfma_f32_16x16x16_f16 v[144:147], a[6:7], v[102:103], v[144:147]// 00000000B080: D3CD0090 0E42CD06
	v_mfma_f32_16x16x16_f16 v[144:147], a[8:9], v[104:105], v[144:147]// 00000000B088: D3CD0090 0E42D108
	v_mfma_f32_16x16x16_f16 v[144:147], a[10:11], v[106:107], v[144:147]// 00000000B090: D3CD0090 0E42D50A
	v_mfma_f32_16x16x16_f16 v[144:147], a[12:13], v[108:109], v[144:147]// 00000000B098: D3CD0090 0E42D90C
	v_mfma_f32_16x16x16_f16 v[144:147], a[14:15], v[110:111], v[144:147]// 00000000B0A0: D3CD0090 0E42DD0E
	v_mfma_f32_16x16x16_f16 v[148:151], a[16:17], v[96:97], 0  // 00000000B0A8: D3CD0094 0A02C110
	v_mfma_f32_16x16x16_f16 v[148:151], a[18:19], v[98:99], v[148:151]// 00000000B0B0: D3CD0094 0E52C512
	v_mfma_f32_16x16x16_f16 v[148:151], a[20:21], v[100:101], v[148:151]// 00000000B0B8: D3CD0094 0E52C914
	v_mfma_f32_16x16x16_f16 v[148:151], a[22:23], v[102:103], v[148:151]// 00000000B0C0: D3CD0094 0E52CD16
	v_mfma_f32_16x16x16_f16 v[148:151], a[24:25], v[104:105], v[148:151]// 00000000B0C8: D3CD0094 0E52D118
	v_mfma_f32_16x16x16_f16 v[148:151], a[26:27], v[106:107], v[148:151]// 00000000B0D0: D3CD0094 0E52D51A
	v_mfma_f32_16x16x16_f16 v[148:151], a[28:29], v[108:109], v[148:151]// 00000000B0D8: D3CD0094 0E52D91C
	v_mfma_f32_16x16x16_f16 v[148:151], a[30:31], v[110:111], v[148:151]// 00000000B0E0: D3CD0094 0E52DD1E
	v_mfma_f32_16x16x16_f16 v[152:155], a[32:33], v[96:97], 0  // 00000000B0E8: D3CD0098 0A02C120
	v_mfma_f32_16x16x16_f16 v[152:155], a[34:35], v[98:99], v[152:155]// 00000000B0F0: D3CD0098 0E62C522
	v_mfma_f32_16x16x16_f16 v[152:155], a[36:37], v[100:101], v[152:155]// 00000000B0F8: D3CD0098 0E62C924
	v_mfma_f32_16x16x16_f16 v[152:155], a[38:39], v[102:103], v[152:155]// 00000000B100: D3CD0098 0E62CD26
	v_mfma_f32_16x16x16_f16 v[152:155], a[40:41], v[104:105], v[152:155]// 00000000B108: D3CD0098 0E62D128
	v_mfma_f32_16x16x16_f16 v[152:155], a[42:43], v[106:107], v[152:155]// 00000000B110: D3CD0098 0E62D52A
	v_mfma_f32_16x16x16_f16 v[152:155], a[44:45], v[108:109], v[152:155]// 00000000B118: D3CD0098 0E62D92C
	v_mfma_f32_16x16x16_f16 v[152:155], a[46:47], v[110:111], v[152:155]// 00000000B120: D3CD0098 0E62DD2E
	v_mfma_f32_16x16x16_f16 v[156:159], a[48:49], v[96:97], 0  // 00000000B128: D3CD009C 0A02C130
	v_mfma_f32_16x16x16_f16 v[156:159], a[50:51], v[98:99], v[156:159]// 00000000B130: D3CD009C 0E72C532
	v_mfma_f32_16x16x16_f16 v[156:159], a[52:53], v[100:101], v[156:159]// 00000000B138: D3CD009C 0E72C934
	v_mfma_f32_16x16x16_f16 v[156:159], a[54:55], v[102:103], v[156:159]// 00000000B140: D3CD009C 0E72CD36
	v_mfma_f32_16x16x16_f16 v[156:159], a[56:57], v[104:105], v[156:159]// 00000000B148: D3CD009C 0E72D138
	v_mfma_f32_16x16x16_f16 v[156:159], a[58:59], v[106:107], v[156:159]// 00000000B150: D3CD009C 0E72D53A
	v_mfma_f32_16x16x16_f16 v[156:159], a[60:61], v[108:109], v[156:159]// 00000000B158: D3CD009C 0E72D93C
	v_mfma_f32_16x16x16_f16 v[156:159], a[62:63], v[110:111], v[156:159]// 00000000B160: D3CD009C 0E72DD3E
	buffer_load_dwordx4 a[96:99], v29, s[16:19], 0 offen       // 00000000B168: E05C1000 8084601D
	s_nop 8                                                    // 00000000B170: BF800008
	buffer_load_dwordx4 a[100:103], v29, s[16:19], 0 offen offset:1024// 00000000B174: E05C1400 8084641D
	v_mov_b32_e32 v50, v112                                    // 00000000B17C: 7E640370
	v_max3_f32 v50, v112, v113, v50                            // 00000000B180: D1D30032 04CAE370
	v_max3_f32 v50, v114, v115, v50                            // 00000000B188: D1D30032 04CAE772
	v_max3_f32 v50, v116, v117, v50                            // 00000000B190: D1D30032 04CAEB74
	v_max3_f32 v50, v118, v119, v50                            // 00000000B198: D1D30032 04CAEF76
	v_max3_f32 v50, v120, v121, v50                            // 00000000B1A0: D1D30032 04CAF378
	v_max3_f32 v50, v122, v123, v50                            // 00000000B1A8: D1D30032 04CAF77A
	v_max3_f32 v50, v124, v125, v50                            // 00000000B1B0: D1D30032 04CAFB7C
	v_max3_f32 v50, v126, v127, v50                            // 00000000B1B8: D1D30032 04CAFF7E
	ds_write_b32 v11, v50                                      // 00000000B1C0: D81A0000 0000320B
	buffer_load_dwordx4 a[104:107], v29, s[16:19], 0 offen offset:2048// 00000000B1C8: E05C1800 8084681D
	s_waitcnt lgkmcnt(0)                                       // 00000000B1D0: BF8CC07F
	s_barrier                                                  // 00000000B1D4: BF8A0000
	ds_read_b32 v64, v10                                       // 00000000B1D8: D86C0000 4000000A
	buffer_load_dwordx4 a[108:111], v29, s[16:19], 0 offen offset:3072// 00000000B1E0: E05C1C00 80846C1D
	ds_read_b32 v65, v10 offset:64                             // 00000000B1E8: D86C0040 4100000A
	ds_read_b32 v66, v10 offset:128                            // 00000000B1F0: D86C0080 4200000A
	ds_read_b32 v67, v10 offset:192                            // 00000000B1F8: D86C00C0 4300000A
	ds_read_b32 v68, v10 offset:256                            // 00000000B200: D86C0100 4400000A
	ds_read_b32 v69, v10 offset:320                            // 00000000B208: D86C0140 4500000A
	ds_read_b32 v70, v10 offset:384                            // 00000000B210: D86C0180 4600000A
	ds_read_b32 v71, v10 offset:448                            // 00000000B218: D86C01C0 4700000A
	ds_read_b32 v72, v10 offset:512                            // 00000000B220: D86C0200 4800000A
	buffer_load_dwordx4 a[112:115], v30, s[16:19], 0 offen     // 00000000B228: E05C1000 8084701E
	ds_read_b32 v73, v10 offset:576                            // 00000000B230: D86C0240 4900000A
	ds_read_b32 v74, v10 offset:640                            // 00000000B238: D86C0280 4A00000A
	ds_read_b32 v75, v10 offset:704                            // 00000000B240: D86C02C0 4B00000A
	ds_read_b32 v76, v10 offset:768                            // 00000000B248: D86C0300 4C00000A
	ds_read_b32 v77, v10 offset:832                            // 00000000B250: D86C0340 4D00000A
	ds_read_b32 v78, v10 offset:896                            // 00000000B258: D86C0380 4E00000A
	ds_read_b32 v79, v10 offset:960                            // 00000000B260: D86C03C0 4F00000A
	buffer_load_dwordx4 a[116:119], v30, s[16:19], 0 offen offset:1024// 00000000B268: E05C1400 8084741E
	buffer_load_dwordx4 a[120:123], v30, s[16:19], 0 offen offset:2048// 00000000B270: E05C1800 8084781E
	s_waitcnt lgkmcnt(0)                                       // 00000000B278: BF8CC07F
	v_max3_f32 v50, v64, v65, v50                              // 00000000B27C: D1D30032 04CA8340
	v_max3_f32 v50, v66, v67, v50                              // 00000000B284: D1D30032 04CA8742
	v_max3_f32 v50, v68, v69, v50                              // 00000000B28C: D1D30032 04CA8B44
	v_max3_f32 v50, v70, v71, v50                              // 00000000B294: D1D30032 04CA8F46
	v_max3_f32 v50, v72, v73, v50                              // 00000000B29C: D1D30032 04CA9348
	v_max3_f32 v50, v74, v75, v50                              // 00000000B2A4: D1D30032 04CA974A
	v_max3_f32 v50, v76, v77, v50                              // 00000000B2AC: D1D30032 04CA9B4C
	v_max3_f32 v50, v78, v79, v50                              // 00000000B2B4: D1D30032 04CA9F4E
	buffer_load_dwordx4 a[124:127], v30, s[16:19], 0 offen offset:3072// 00000000B2BC: E05C1C00 80847C1E
	v_cmp_eq_u32_e64 s[40:41], v55, v14                        // 00000000B2C4: D0CA0028 00021D37
	s_nop 1                                                    // 00000000B2CC: BF800001
	v_max_f32_e32 v16, v50, v14                                // 00000000B2D0: 16201D32
	v_sub_f32_e32 v51, v14, v16                                // 00000000B2D4: 0466210E
	v_cndmask_b32_e64 v51, v51, 0, s[40:41]                    // 00000000B2D8: D1000033 00A10133
	v_mov_b32_e32 v14, v16                                     // 00000000B2E0: 7E1C0310
	v_mul_f32_e32 v53, s64, v16                                // 00000000B2E4: 0A6A2040
	v_mul_f32_e32 v51, s64, v51                                // 00000000B2E8: 0A666640
	v_exp_f32_e32 v51, v51                                     // 00000000B2EC: 7E664133
	buffer_load_dwordx4 a[192:195], v200, s[20:23], 0 offen    // 00000000B2F0: E05C1000 8085C0C8
	v_fma_f32 v112, v112, s64, -v53                            // 00000000B2F8: D1CB0070 84D48170
	v_fma_f32 v113, v113, s64, -v53                            // 00000000B300: D1CB0071 84D48171
	v_fma_f32 v114, v114, s64, -v53                            // 00000000B308: D1CB0072 84D48172
	v_fma_f32 v115, v115, s64, -v53                            // 00000000B310: D1CB0073 84D48173
	v_fma_f32 v116, v116, s64, -v53                            // 00000000B318: D1CB0074 84D48174
	v_fma_f32 v117, v117, s64, -v53                            // 00000000B320: D1CB0075 84D48175
	v_fma_f32 v118, v118, s64, -v53                            // 00000000B328: D1CB0076 84D48176
	v_fma_f32 v119, v119, s64, -v53                            // 00000000B330: D1CB0077 84D48177
	v_fma_f32 v120, v120, s64, -v53                            // 00000000B338: D1CB0078 84D48178
	v_fma_f32 v121, v121, s64, -v53                            // 00000000B340: D1CB0079 84D48179
	v_fma_f32 v122, v122, s64, -v53                            // 00000000B348: D1CB007A 84D4817A
	v_fma_f32 v123, v123, s64, -v53                            // 00000000B350: D1CB007B 84D4817B
	v_fma_f32 v124, v124, s64, -v53                            // 00000000B358: D1CB007C 84D4817C
	v_fma_f32 v125, v125, s64, -v53                            // 00000000B360: D1CB007D 84D4817D
	v_fma_f32 v126, v126, s64, -v53                            // 00000000B368: D1CB007E 84D4817E
	v_fma_f32 v127, v127, s64, -v53                            // 00000000B370: D1CB007F 84D4817F
	v_exp_f32_e32 v112, v112                                   // 00000000B378: 7EE04170
	v_exp_f32_e32 v113, v113                                   // 00000000B37C: 7EE24171
	v_exp_f32_e32 v114, v114                                   // 00000000B380: 7EE44172
	v_exp_f32_e32 v115, v115                                   // 00000000B384: 7EE64173
	v_exp_f32_e32 v116, v116                                   // 00000000B388: 7EE84174
	v_exp_f32_e32 v117, v117                                   // 00000000B38C: 7EEA4175
	v_exp_f32_e32 v118, v118                                   // 00000000B390: 7EEC4176
	v_exp_f32_e32 v119, v119                                   // 00000000B394: 7EEE4177
	v_exp_f32_e32 v120, v120                                   // 00000000B398: 7EF04178
	v_exp_f32_e32 v121, v121                                   // 00000000B39C: 7EF24179
	v_exp_f32_e32 v122, v122                                   // 00000000B3A0: 7EF4417A
	v_exp_f32_e32 v123, v123                                   // 00000000B3A4: 7EF6417B
	v_exp_f32_e32 v124, v124                                   // 00000000B3A8: 7EF8417C
	v_exp_f32_e32 v125, v125                                   // 00000000B3AC: 7EFA417D
	v_exp_f32_e32 v126, v126                                   // 00000000B3B0: 7EFC417E
	v_exp_f32_e32 v127, v127                                   // 00000000B3B4: 7EFE417F
	buffer_load_dwordx4 a[196:199], v201, s[20:23], 0 offen    // 00000000B3B8: E05C1000 8085C4C9
	v_mul_f32_e32 v43, v51, v43                                // 00000000B3C0: 0A565733
	v_mov_b32_e32 v45, v112                                    // 00000000B3C4: 7E5A0370
	v_add_f32_e32 v45, v113, v45                               // 00000000B3C8: 025A5B71
	v_add_f32_e32 v45, v114, v45                               // 00000000B3CC: 025A5B72
	v_add_f32_e32 v45, v115, v45                               // 00000000B3D0: 025A5B73
	v_add_f32_e32 v45, v116, v45                               // 00000000B3D4: 025A5B74
	v_add_f32_e32 v45, v117, v45                               // 00000000B3D8: 025A5B75
	v_add_f32_e32 v45, v118, v45                               // 00000000B3DC: 025A5B76
	v_add_f32_e32 v45, v119, v45                               // 00000000B3E0: 025A5B77
	v_add_f32_e32 v45, v120, v45                               // 00000000B3E4: 025A5B78
	v_add_f32_e32 v45, v121, v45                               // 00000000B3E8: 025A5B79
	v_add_f32_e32 v45, v122, v45                               // 00000000B3EC: 025A5B7A
	v_add_f32_e32 v45, v123, v45                               // 00000000B3F0: 025A5B7B
	v_add_f32_e32 v45, v124, v45                               // 00000000B3F4: 025A5B7C
	v_add_f32_e32 v45, v125, v45                               // 00000000B3F8: 025A5B7D
	v_add_f32_e32 v45, v126, v45                               // 00000000B3FC: 025A5B7E
	v_add_f32_e32 v45, v127, v45                               // 00000000B400: 025A5B7F
	v_add_f32_e32 v43, v45, v43                                // 00000000B404: 0256572D
	buffer_load_dwordx4 a[200:203], v202, s[20:23], 0 offen    // 00000000B408: E05C1000 8085C8CA
	v_cvt_pkrtz_f16_f32 v39, v112, v113                        // 00000000B410: D2960027 0002E370
	v_mov_b32_e32 v112, v39                                    // 00000000B418: 7EE00327
	v_cvt_pkrtz_f16_f32 v39, v114, v115                        // 00000000B41C: D2960027 0002E772
	v_mov_b32_e32 v113, v39                                    // 00000000B424: 7EE20327
	v_cvt_pkrtz_f16_f32 v39, v116, v117                        // 00000000B428: D2960027 0002EB74
	v_mov_b32_e32 v114, v39                                    // 00000000B430: 7EE40327
	v_cvt_pkrtz_f16_f32 v39, v118, v119                        // 00000000B434: D2960027 0002EF76
	v_mov_b32_e32 v115, v39                                    // 00000000B43C: 7EE60327
	v_cvt_pkrtz_f16_f32 v39, v120, v121                        // 00000000B440: D2960027 0002F378
	v_mov_b32_e32 v116, v39                                    // 00000000B448: 7EE80327
	v_cvt_pkrtz_f16_f32 v39, v122, v123                        // 00000000B44C: D2960027 0002F77A
	v_mov_b32_e32 v117, v39                                    // 00000000B454: 7EEA0327
	v_cvt_pkrtz_f16_f32 v39, v124, v125                        // 00000000B458: D2960027 0002FB7C
	v_mov_b32_e32 v118, v39                                    // 00000000B460: 7EEC0327
	v_cvt_pkrtz_f16_f32 v39, v126, v127                        // 00000000B464: D2960027 0002FF7E
	v_mov_b32_e32 v119, v39                                    // 00000000B46C: 7EEE0327
	buffer_load_dwordx4 a[204:207], v203, s[20:23], 0 offen    // 00000000B470: E05C1000 8085CCCB
	buffer_load_dwordx4 a[208:211], v204, s[20:23], 0 offen    // 00000000B478: E05C1000 8085D0CC
	ds_write_b64 v13, v[112:113] offset:4096                   // 00000000B480: D89A1000 0000700D
	ds_write_b64 v13, v[114:115] offset:6144                   // 00000000B488: D89A1800 0000720D
	ds_write_b64 v13, v[116:117] offset:8192                   // 00000000B490: D89A2000 0000740D
	ds_write_b64 v13, v[118:119] offset:10240                  // 00000000B498: D89A2800 0000760D
	buffer_load_dwordx4 a[212:215], v205, s[20:23], 0 offen    // 00000000B4A0: E05C1000 8085D4CD
	s_waitcnt lgkmcnt(0)                                       // 00000000B4A8: BF8CC07F
	s_barrier                                                  // 00000000B4AC: BF8A0000
	ds_read_b64 v[112:113], v12 offset:4096                    // 00000000B4B0: D8EC1000 7000000C
	ds_read_b64 v[114:115], v12 offset:4224                    // 00000000B4B8: D8EC1080 7200000C
	ds_read_b64 v[116:117], v12 offset:5120                    // 00000000B4C0: D8EC1400 7400000C
	ds_read_b64 v[118:119], v12 offset:5248                    // 00000000B4C8: D8EC1480 7600000C
	ds_read_b64 v[120:121], v12 offset:6144                    // 00000000B4D0: D8EC1800 7800000C
	ds_read_b64 v[122:123], v12 offset:6272                    // 00000000B4D8: D8EC1880 7A00000C
	ds_read_b64 v[124:125], v12 offset:7168                    // 00000000B4E0: D8EC1C00 7C00000C
	ds_read_b64 v[126:127], v12 offset:7296                    // 00000000B4E8: D8EC1C80 7E00000C
	ds_read_b64 v[128:129], v12 offset:8192                    // 00000000B4F0: D8EC2000 8000000C
	ds_read_b64 v[130:131], v12 offset:8320                    // 00000000B4F8: D8EC2080 8200000C
	ds_read_b64 v[132:133], v12 offset:9216                    // 00000000B500: D8EC2400 8400000C
	ds_read_b64 v[134:135], v12 offset:9344                    // 00000000B508: D8EC2480 8600000C
	ds_read_b64 v[136:137], v12 offset:10240                   // 00000000B510: D8EC2800 8800000C
	ds_read_b64 v[138:139], v12 offset:10368                   // 00000000B518: D8EC2880 8A00000C
	ds_read_b64 v[140:141], v12 offset:11264                   // 00000000B520: D8EC2C00 8C00000C
	ds_read_b64 v[142:143], v12 offset:11392                   // 00000000B528: D8EC2C80 8E00000C
	buffer_load_dwordx4 a[216:219], v206, s[20:23], 0 offen    // 00000000B530: E05C1000 8085D8CE
	buffer_load_dwordx4 a[220:223], v207, s[20:23], 0 offen    // 00000000B538: E05C1000 8085DCCF
	s_waitcnt lgkmcnt(0)                                       // 00000000B540: BF8CC07F
	s_nop 8                                                    // 00000000B544: BF800008
	v_mov_b32_e32 v50, v144                                    // 00000000B548: 7E640390
	v_max3_f32 v50, v144, v145, v50                            // 00000000B54C: D1D30032 04CB2390
	v_max3_f32 v50, v146, v147, v50                            // 00000000B554: D1D30032 04CB2792
	v_max3_f32 v50, v148, v149, v50                            // 00000000B55C: D1D30032 04CB2B94
	v_max3_f32 v50, v150, v151, v50                            // 00000000B564: D1D30032 04CB2F96
	v_max3_f32 v50, v152, v153, v50                            // 00000000B56C: D1D30032 04CB3398
	v_max3_f32 v50, v154, v155, v50                            // 00000000B574: D1D30032 04CB379A
	v_max3_f32 v50, v156, v157, v50                            // 00000000B57C: D1D30032 04CB3B9C
	v_max3_f32 v50, v158, v159, v50                            // 00000000B584: D1D30032 04CB3F9E
	ds_write_b32 v11, v50                                      // 00000000B58C: D81A0000 0000320B
	s_waitcnt lgkmcnt(0)                                       // 00000000B594: BF8CC07F
	s_barrier                                                  // 00000000B598: BF8A0000
	ds_read_b32 v64, v10                                       // 00000000B59C: D86C0000 4000000A
	ds_read_b32 v65, v10 offset:64                             // 00000000B5A4: D86C0040 4100000A
	ds_read_b32 v66, v10 offset:128                            // 00000000B5AC: D86C0080 4200000A
	ds_read_b32 v67, v10 offset:192                            // 00000000B5B4: D86C00C0 4300000A
	ds_read_b32 v68, v10 offset:256                            // 00000000B5BC: D86C0100 4400000A
	ds_read_b32 v69, v10 offset:320                            // 00000000B5C4: D86C0140 4500000A
	ds_read_b32 v70, v10 offset:384                            // 00000000B5CC: D86C0180 4600000A
	ds_read_b32 v71, v10 offset:448                            // 00000000B5D4: D86C01C0 4700000A
	ds_read_b32 v72, v10 offset:512                            // 00000000B5DC: D86C0200 4800000A
	ds_read_b32 v73, v10 offset:576                            // 00000000B5E4: D86C0240 4900000A
	ds_read_b32 v74, v10 offset:640                            // 00000000B5EC: D86C0280 4A00000A
	ds_read_b32 v75, v10 offset:704                            // 00000000B5F4: D86C02C0 4B00000A
	ds_read_b32 v76, v10 offset:768                            // 00000000B5FC: D86C0300 4C00000A
	ds_read_b32 v77, v10 offset:832                            // 00000000B604: D86C0340 4D00000A
	ds_read_b32 v78, v10 offset:896                            // 00000000B60C: D86C0380 4E00000A
	ds_read_b32 v79, v10 offset:960                            // 00000000B614: D86C03C0 4F00000A
	s_waitcnt lgkmcnt(0)                                       // 00000000B61C: BF8CC07F
	v_max3_f32 v50, v64, v65, v50                              // 00000000B620: D1D30032 04CA8340
	v_max3_f32 v50, v66, v67, v50                              // 00000000B628: D1D30032 04CA8742
	v_max3_f32 v50, v68, v69, v50                              // 00000000B630: D1D30032 04CA8B44
	v_max3_f32 v50, v70, v71, v50                              // 00000000B638: D1D30032 04CA8F46
	v_max3_f32 v50, v72, v73, v50                              // 00000000B640: D1D30032 04CA9348
	v_max3_f32 v50, v74, v75, v50                              // 00000000B648: D1D30032 04CA974A
	v_max3_f32 v50, v76, v77, v50                              // 00000000B650: D1D30032 04CA9B4C
	v_max3_f32 v50, v78, v79, v50                              // 00000000B658: D1D30032 04CA9F4E
	v_cmp_eq_u32_e64 s[40:41], v55, v15                        // 00000000B660: D0CA0028 00021F37
	s_nop 1                                                    // 00000000B668: BF800001
	v_max_f32_e32 v16, v50, v15                                // 00000000B66C: 16201F32
	v_sub_f32_e32 v52, v15, v16                                // 00000000B670: 0468210F
	v_cndmask_b32_e64 v52, v52, 0, s[40:41]                    // 00000000B674: D1000034 00A10134
	v_mov_b32_e32 v15, v16                                     // 00000000B67C: 7E1E0310
	v_mul_f32_e32 v53, s64, v16                                // 00000000B680: 0A6A2040
	v_mul_f32_e32 v52, s64, v52                                // 00000000B684: 0A686840
	v_exp_f32_e32 v52, v52                                     // 00000000B688: 7E684134
	v_fma_f32 v144, v144, s64, -v53                            // 00000000B68C: D1CB0090 84D48190
	v_fma_f32 v145, v145, s64, -v53                            // 00000000B694: D1CB0091 84D48191
	v_fma_f32 v146, v146, s64, -v53                            // 00000000B69C: D1CB0092 84D48192
	v_fma_f32 v147, v147, s64, -v53                            // 00000000B6A4: D1CB0093 84D48193
	v_fma_f32 v148, v148, s64, -v53                            // 00000000B6AC: D1CB0094 84D48194
	v_fma_f32 v149, v149, s64, -v53                            // 00000000B6B4: D1CB0095 84D48195
	v_fma_f32 v150, v150, s64, -v53                            // 00000000B6BC: D1CB0096 84D48196
	v_fma_f32 v151, v151, s64, -v53                            // 00000000B6C4: D1CB0097 84D48197
	v_fma_f32 v152, v152, s64, -v53                            // 00000000B6CC: D1CB0098 84D48198
	v_fma_f32 v153, v153, s64, -v53                            // 00000000B6D4: D1CB0099 84D48199
	v_fma_f32 v154, v154, s64, -v53                            // 00000000B6DC: D1CB009A 84D4819A
	v_fma_f32 v155, v155, s64, -v53                            // 00000000B6E4: D1CB009B 84D4819B
	v_fma_f32 v156, v156, s64, -v53                            // 00000000B6EC: D1CB009C 84D4819C
	v_fma_f32 v157, v157, s64, -v53                            // 00000000B6F4: D1CB009D 84D4819D
	v_fma_f32 v158, v158, s64, -v53                            // 00000000B6FC: D1CB009E 84D4819E
	v_fma_f32 v159, v159, s64, -v53                            // 00000000B704: D1CB009F 84D4819F
	v_exp_f32_e32 v144, v144                                   // 00000000B70C: 7F204190
	v_exp_f32_e32 v145, v145                                   // 00000000B710: 7F224191
	v_exp_f32_e32 v146, v146                                   // 00000000B714: 7F244192
	v_exp_f32_e32 v147, v147                                   // 00000000B718: 7F264193
	v_exp_f32_e32 v148, v148                                   // 00000000B71C: 7F284194
	v_exp_f32_e32 v149, v149                                   // 00000000B720: 7F2A4195
	v_exp_f32_e32 v150, v150                                   // 00000000B724: 7F2C4196
	v_exp_f32_e32 v151, v151                                   // 00000000B728: 7F2E4197
	v_exp_f32_e32 v152, v152                                   // 00000000B72C: 7F304198
	v_exp_f32_e32 v153, v153                                   // 00000000B730: 7F324199
	v_exp_f32_e32 v154, v154                                   // 00000000B734: 7F34419A
	v_exp_f32_e32 v155, v155                                   // 00000000B738: 7F36419B
	v_exp_f32_e32 v156, v156                                   // 00000000B73C: 7F38419C
	v_exp_f32_e32 v157, v157                                   // 00000000B740: 7F3A419D
	v_exp_f32_e32 v158, v158                                   // 00000000B744: 7F3C419E
	v_exp_f32_e32 v159, v159                                   // 00000000B748: 7F3E419F
	v_mul_f32_e32 v44, v52, v44                                // 00000000B74C: 0A585934
	v_mov_b32_e32 v45, v144                                    // 00000000B750: 7E5A0390
	v_add_f32_e32 v45, v145, v45                               // 00000000B754: 025A5B91
	v_add_f32_e32 v45, v146, v45                               // 00000000B758: 025A5B92
	v_add_f32_e32 v45, v147, v45                               // 00000000B75C: 025A5B93
	v_add_f32_e32 v45, v148, v45                               // 00000000B760: 025A5B94
	v_add_f32_e32 v45, v149, v45                               // 00000000B764: 025A5B95
	v_add_f32_e32 v45, v150, v45                               // 00000000B768: 025A5B96
	v_add_f32_e32 v45, v151, v45                               // 00000000B76C: 025A5B97
	v_add_f32_e32 v45, v152, v45                               // 00000000B770: 025A5B98
	v_add_f32_e32 v45, v153, v45                               // 00000000B774: 025A5B99
	v_add_f32_e32 v45, v154, v45                               // 00000000B778: 025A5B9A
	v_add_f32_e32 v45, v155, v45                               // 00000000B77C: 025A5B9B
	v_add_f32_e32 v45, v156, v45                               // 00000000B780: 025A5B9C
	v_add_f32_e32 v45, v157, v45                               // 00000000B784: 025A5B9D
	v_add_f32_e32 v45, v158, v45                               // 00000000B788: 025A5B9E
	v_add_f32_e32 v45, v159, v45                               // 00000000B78C: 025A5B9F
	v_add_f32_e32 v44, v45, v44                                // 00000000B790: 0258592D
	v_cvt_pkrtz_f16_f32 v39, v144, v145                        // 00000000B794: D2960027 00032390
	v_mov_b32_e32 v144, v39                                    // 00000000B79C: 7F200327
	v_cvt_pkrtz_f16_f32 v39, v146, v147                        // 00000000B7A0: D2960027 00032792
	v_mov_b32_e32 v145, v39                                    // 00000000B7A8: 7F220327
	v_cvt_pkrtz_f16_f32 v39, v148, v149                        // 00000000B7AC: D2960027 00032B94
	v_mov_b32_e32 v146, v39                                    // 00000000B7B4: 7F240327
	v_cvt_pkrtz_f16_f32 v39, v150, v151                        // 00000000B7B8: D2960027 00032F96
	v_mov_b32_e32 v147, v39                                    // 00000000B7C0: 7F260327
	v_cvt_pkrtz_f16_f32 v39, v152, v153                        // 00000000B7C4: D2960027 00033398
	v_mov_b32_e32 v148, v39                                    // 00000000B7CC: 7F280327
	v_cvt_pkrtz_f16_f32 v39, v154, v155                        // 00000000B7D0: D2960027 0003379A
	v_mov_b32_e32 v149, v39                                    // 00000000B7D8: 7F2A0327
	v_cvt_pkrtz_f16_f32 v39, v156, v157                        // 00000000B7DC: D2960027 00033B9C
	v_mov_b32_e32 v150, v39                                    // 00000000B7E4: 7F2C0327
	v_cvt_pkrtz_f16_f32 v39, v158, v159                        // 00000000B7E8: D2960027 00033F9E
	v_mov_b32_e32 v151, v39                                    // 00000000B7F0: 7F2E0327
	ds_write_b64 v13, v[144:145] offset:4096                   // 00000000B7F4: D89A1000 0000900D
	ds_write_b64 v13, v[146:147] offset:6144                   // 00000000B7FC: D89A1800 0000920D
	ds_write_b64 v13, v[148:149] offset:8192                   // 00000000B804: D89A2000 0000940D
	ds_write_b64 v13, v[150:151] offset:10240                  // 00000000B80C: D89A2800 0000960D
	s_waitcnt lgkmcnt(0)                                       // 00000000B814: BF8CC07F
	s_barrier                                                  // 00000000B818: BF8A0000
	ds_read_b64 v[144:145], v12 offset:4096                    // 00000000B81C: D8EC1000 9000000C
	ds_read_b64 v[146:147], v12 offset:4224                    // 00000000B824: D8EC1080 9200000C
	ds_read_b64 v[148:149], v12 offset:5120                    // 00000000B82C: D8EC1400 9400000C
	ds_read_b64 v[150:151], v12 offset:5248                    // 00000000B834: D8EC1480 9600000C
	ds_read_b64 v[152:153], v12 offset:6144                    // 00000000B83C: D8EC1800 9800000C
	ds_read_b64 v[154:155], v12 offset:6272                    // 00000000B844: D8EC1880 9A00000C
	ds_read_b64 v[156:157], v12 offset:7168                    // 00000000B84C: D8EC1C00 9C00000C
	ds_read_b64 v[158:159], v12 offset:7296                    // 00000000B854: D8EC1C80 9E00000C
	ds_read_b64 v[160:161], v12 offset:8192                    // 00000000B85C: D8EC2000 A000000C
	ds_read_b64 v[162:163], v12 offset:8320                    // 00000000B864: D8EC2080 A200000C
	ds_read_b64 v[164:165], v12 offset:9216                    // 00000000B86C: D8EC2400 A400000C
	ds_read_b64 v[166:167], v12 offset:9344                    // 00000000B874: D8EC2480 A600000C
	ds_read_b64 v[168:169], v12 offset:10240                   // 00000000B87C: D8EC2800 A800000C
	ds_read_b64 v[170:171], v12 offset:10368                   // 00000000B884: D8EC2880 AA00000C
	ds_read_b64 v[172:173], v12 offset:11264                   // 00000000B88C: D8EC2C00 AC00000C
	ds_read_b64 v[174:175], v12 offset:11392                   // 00000000B894: D8EC2C80 AE00000C
	s_waitcnt lgkmcnt(0)                                       // 00000000B89C: BF8CC07F
	v_mul_f32_e32 v176, v51, v176                              // 00000000B8A0: 0B616133
	v_mul_f32_e32 v177, v51, v177                              // 00000000B8A4: 0B636333
	v_mul_f32_e32 v178, v51, v178                              // 00000000B8A8: 0B656533
	v_mul_f32_e32 v179, v51, v179                              // 00000000B8AC: 0B676733
	v_mul_f32_e32 v180, v51, v180                              // 00000000B8B0: 0B696933
	v_mul_f32_e32 v181, v51, v181                              // 00000000B8B4: 0B6B6B33
	v_mul_f32_e32 v182, v51, v182                              // 00000000B8B8: 0B6D6D33
	v_mul_f32_e32 v183, v51, v183                              // 00000000B8BC: 0B6F6F33
	v_mul_f32_e32 v184, v52, v184                              // 00000000B8C0: 0B717134
	v_mul_f32_e32 v185, v52, v185                              // 00000000B8C4: 0B737334
	v_mul_f32_e32 v186, v52, v186                              // 00000000B8C8: 0B757534
	v_mul_f32_e32 v187, v52, v187                              // 00000000B8CC: 0B777734
	v_mul_f32_e32 v188, v52, v188                              // 00000000B8D0: 0B797934
	v_mul_f32_e32 v189, v52, v189                              // 00000000B8D4: 0B7B7B34
	v_mul_f32_e32 v190, v52, v190                              // 00000000B8D8: 0B7D7D34
	v_mul_f32_e32 v191, v52, v191                              // 00000000B8DC: 0B7F7F34
	s_waitcnt vmcnt(24)                                        // 00000000B8E0: BF8C4F78
	v_mfma_f32_16x16x16_f16 v[176:179], a[128:129], v[112:113], v[176:179]// 00000000B8E4: D3CD00B0 0EC2E180
	buffer_load_dwordx4 a[224:227], v200, s[20:23], 0 offen offset:1024// 00000000B8EC: E05C1400 8085E0C8
	v_mfma_f32_16x16x16_f16 v[176:179], a[130:131], v[114:115], v[176:179]// 00000000B8F4: D3CD00B0 0EC2E582
	v_mfma_f32_16x16x16_f16 v[176:179], a[132:133], v[116:117], v[176:179]// 00000000B8FC: D3CD00B0 0EC2E984
	v_mfma_f32_16x16x16_f16 v[176:179], a[134:135], v[118:119], v[176:179]// 00000000B904: D3CD00B0 0EC2ED86
	v_mfma_f32_16x16x16_f16 v[176:179], a[136:137], v[120:121], v[176:179]// 00000000B90C: D3CD00B0 0EC2F188
	buffer_load_dwordx4 a[228:231], v201, s[20:23], 0 offen offset:1024// 00000000B914: E05C1400 8085E4C9
	v_mfma_f32_16x16x16_f16 v[176:179], a[138:139], v[122:123], v[176:179]// 00000000B91C: D3CD00B0 0EC2F58A
	v_mfma_f32_16x16x16_f16 v[176:179], a[140:141], v[124:125], v[176:179]// 00000000B924: D3CD00B0 0EC2F98C
	v_mfma_f32_16x16x16_f16 v[176:179], a[142:143], v[126:127], v[176:179]// 00000000B92C: D3CD00B0 0EC2FD8E
	v_mfma_f32_16x16x16_f16 v[176:179], a[144:145], v[128:129], v[176:179]// 00000000B934: D3CD00B0 0EC30190
	buffer_load_dwordx4 a[232:235], v202, s[20:23], 0 offen offset:1024// 00000000B93C: E05C1400 8085E8CA
	v_mfma_f32_16x16x16_f16 v[176:179], a[146:147], v[130:131], v[176:179]// 00000000B944: D3CD00B0 0EC30592
	v_mfma_f32_16x16x16_f16 v[176:179], a[148:149], v[132:133], v[176:179]// 00000000B94C: D3CD00B0 0EC30994
	v_mfma_f32_16x16x16_f16 v[176:179], a[150:151], v[134:135], v[176:179]// 00000000B954: D3CD00B0 0EC30D96
	v_mfma_f32_16x16x16_f16 v[176:179], a[152:153], v[136:137], v[176:179]// 00000000B95C: D3CD00B0 0EC31198
	buffer_load_dwordx4 a[236:239], v203, s[20:23], 0 offen offset:1024// 00000000B964: E05C1400 8085ECCB
	v_mfma_f32_16x16x16_f16 v[176:179], a[154:155], v[138:139], v[176:179]// 00000000B96C: D3CD00B0 0EC3159A
	v_mfma_f32_16x16x16_f16 v[176:179], a[156:157], v[140:141], v[176:179]// 00000000B974: D3CD00B0 0EC3199C
	v_mfma_f32_16x16x16_f16 v[176:179], a[158:159], v[142:143], v[176:179]// 00000000B97C: D3CD00B0 0EC31D9E
	v_mfma_f32_16x16x16_f16 v[180:183], a[160:161], v[112:113], v[180:183]// 00000000B984: D3CD00B4 0ED2E1A0
	buffer_load_dwordx4 a[240:243], v204, s[20:23], 0 offen offset:1024// 00000000B98C: E05C1400 8085F0CC
	v_mfma_f32_16x16x16_f16 v[180:183], a[162:163], v[114:115], v[180:183]// 00000000B994: D3CD00B4 0ED2E5A2
	v_mfma_f32_16x16x16_f16 v[180:183], a[164:165], v[116:117], v[180:183]// 00000000B99C: D3CD00B4 0ED2E9A4
	v_mfma_f32_16x16x16_f16 v[180:183], a[166:167], v[118:119], v[180:183]// 00000000B9A4: D3CD00B4 0ED2EDA6
	v_mfma_f32_16x16x16_f16 v[180:183], a[168:169], v[120:121], v[180:183]// 00000000B9AC: D3CD00B4 0ED2F1A8
	buffer_load_dwordx4 a[244:247], v205, s[20:23], 0 offen offset:1024// 00000000B9B4: E05C1400 8085F4CD
	v_mfma_f32_16x16x16_f16 v[180:183], a[170:171], v[122:123], v[180:183]// 00000000B9BC: D3CD00B4 0ED2F5AA
	v_mfma_f32_16x16x16_f16 v[180:183], a[172:173], v[124:125], v[180:183]// 00000000B9C4: D3CD00B4 0ED2F9AC
	v_mfma_f32_16x16x16_f16 v[180:183], a[174:175], v[126:127], v[180:183]// 00000000B9CC: D3CD00B4 0ED2FDAE
	v_mfma_f32_16x16x16_f16 v[180:183], a[176:177], v[128:129], v[180:183]// 00000000B9D4: D3CD00B4 0ED301B0
	buffer_load_dwordx4 a[248:251], v206, s[20:23], 0 offen offset:1024// 00000000B9DC: E05C1400 8085F8CE
	v_mfma_f32_16x16x16_f16 v[180:183], a[178:179], v[130:131], v[180:183]// 00000000B9E4: D3CD00B4 0ED305B2
	v_mfma_f32_16x16x16_f16 v[180:183], a[180:181], v[132:133], v[180:183]// 00000000B9EC: D3CD00B4 0ED309B4
	v_mfma_f32_16x16x16_f16 v[180:183], a[182:183], v[134:135], v[180:183]// 00000000B9F4: D3CD00B4 0ED30DB6
	v_mfma_f32_16x16x16_f16 v[180:183], a[184:185], v[136:137], v[180:183]// 00000000B9FC: D3CD00B4 0ED311B8
	buffer_load_dwordx4 a[252:255], v207, s[20:23], 0 offen offset:1024// 00000000BA04: E05C1400 8085FCCF
	v_mfma_f32_16x16x16_f16 v[180:183], a[186:187], v[138:139], v[180:183]// 00000000BA0C: D3CD00B4 0ED315BA
	v_mfma_f32_16x16x16_f16 v[180:183], a[188:189], v[140:141], v[180:183]// 00000000BA14: D3CD00B4 0ED319BC
	v_mfma_f32_16x16x16_f16 v[180:183], a[190:191], v[142:143], v[180:183]// 00000000BA1C: D3CD00B4 0ED31DBE
	v_mfma_f32_16x16x16_f16 v[184:187], a[128:129], v[144:145], v[184:187]// 00000000BA24: D3CD00B8 0EE32180
	v_mfma_f32_16x16x16_f16 v[184:187], a[130:131], v[146:147], v[184:187]// 00000000BA2C: D3CD00B8 0EE32582
	v_mfma_f32_16x16x16_f16 v[184:187], a[132:133], v[148:149], v[184:187]// 00000000BA34: D3CD00B8 0EE32984
	v_mfma_f32_16x16x16_f16 v[184:187], a[134:135], v[150:151], v[184:187]// 00000000BA3C: D3CD00B8 0EE32D86
	v_mfma_f32_16x16x16_f16 v[184:187], a[136:137], v[152:153], v[184:187]// 00000000BA44: D3CD00B8 0EE33188
	v_mfma_f32_16x16x16_f16 v[184:187], a[138:139], v[154:155], v[184:187]// 00000000BA4C: D3CD00B8 0EE3358A
	v_mfma_f32_16x16x16_f16 v[184:187], a[140:141], v[156:157], v[184:187]// 00000000BA54: D3CD00B8 0EE3398C
	v_mfma_f32_16x16x16_f16 v[184:187], a[142:143], v[158:159], v[184:187]// 00000000BA5C: D3CD00B8 0EE33D8E
	v_mfma_f32_16x16x16_f16 v[184:187], a[144:145], v[160:161], v[184:187]// 00000000BA64: D3CD00B8 0EE34190
	v_mfma_f32_16x16x16_f16 v[184:187], a[146:147], v[162:163], v[184:187]// 00000000BA6C: D3CD00B8 0EE34592
	v_mfma_f32_16x16x16_f16 v[184:187], a[148:149], v[164:165], v[184:187]// 00000000BA74: D3CD00B8 0EE34994
	v_mfma_f32_16x16x16_f16 v[184:187], a[150:151], v[166:167], v[184:187]// 00000000BA7C: D3CD00B8 0EE34D96
	v_mfma_f32_16x16x16_f16 v[184:187], a[152:153], v[168:169], v[184:187]// 00000000BA84: D3CD00B8 0EE35198
	v_mfma_f32_16x16x16_f16 v[184:187], a[154:155], v[170:171], v[184:187]// 00000000BA8C: D3CD00B8 0EE3559A
	v_mfma_f32_16x16x16_f16 v[184:187], a[156:157], v[172:173], v[184:187]// 00000000BA94: D3CD00B8 0EE3599C
	v_mfma_f32_16x16x16_f16 v[184:187], a[158:159], v[174:175], v[184:187]// 00000000BA9C: D3CD00B8 0EE35D9E
	v_mfma_f32_16x16x16_f16 v[188:191], a[160:161], v[144:145], v[188:191]// 00000000BAA4: D3CD00BC 0EF321A0
	v_mfma_f32_16x16x16_f16 v[188:191], a[162:163], v[146:147], v[188:191]// 00000000BAAC: D3CD00BC 0EF325A2
	v_mfma_f32_16x16x16_f16 v[188:191], a[164:165], v[148:149], v[188:191]// 00000000BAB4: D3CD00BC 0EF329A4
	v_mfma_f32_16x16x16_f16 v[188:191], a[166:167], v[150:151], v[188:191]// 00000000BABC: D3CD00BC 0EF32DA6
	v_mfma_f32_16x16x16_f16 v[188:191], a[168:169], v[152:153], v[188:191]// 00000000BAC4: D3CD00BC 0EF331A8
	v_mfma_f32_16x16x16_f16 v[188:191], a[170:171], v[154:155], v[188:191]// 00000000BACC: D3CD00BC 0EF335AA
	v_mfma_f32_16x16x16_f16 v[188:191], a[172:173], v[156:157], v[188:191]// 00000000BAD4: D3CD00BC 0EF339AC
	v_mfma_f32_16x16x16_f16 v[188:191], a[174:175], v[158:159], v[188:191]// 00000000BADC: D3CD00BC 0EF33DAE
	v_mfma_f32_16x16x16_f16 v[188:191], a[176:177], v[160:161], v[188:191]// 00000000BAE4: D3CD00BC 0EF341B0
	v_mfma_f32_16x16x16_f16 v[188:191], a[178:179], v[162:163], v[188:191]// 00000000BAEC: D3CD00BC 0EF345B2
	v_mfma_f32_16x16x16_f16 v[188:191], a[180:181], v[164:165], v[188:191]// 00000000BAF4: D3CD00BC 0EF349B4
	v_mfma_f32_16x16x16_f16 v[188:191], a[182:183], v[166:167], v[188:191]// 00000000BAFC: D3CD00BC 0EF34DB6
	v_mfma_f32_16x16x16_f16 v[188:191], a[184:185], v[168:169], v[188:191]// 00000000BB04: D3CD00BC 0EF351B8
	v_mfma_f32_16x16x16_f16 v[188:191], a[186:187], v[170:171], v[188:191]// 00000000BB0C: D3CD00BC 0EF355BA
	v_mfma_f32_16x16x16_f16 v[188:191], a[188:189], v[172:173], v[188:191]// 00000000BB14: D3CD00BC 0EF359BC
	v_mfma_f32_16x16x16_f16 v[188:191], a[190:191], v[174:175], v[188:191]// 00000000BB1C: D3CD00BC 0EF35DBE
	s_lshr_b32 s60, s70, 4                                     // 00000000BB24: 8F3C8446
	s_add_u32 s60, 48, s60                                     // 00000000BB28: 803C3CB0
	s_cmp_ge_u32 s60, s73                                      // 00000000BB2C: BF09493C
	s_cselect_b32 s56, 0, s56                                  // 00000000BB30: 85383880
	v_mul_u32_u24_dpp v39, v17, v54 row_newbcast:0 row_mask:0xf bank_mask:0xf// 00000000BB34: 104E6CFA FF015011
	v_mul_u32_u24_dpp v40, v17, v54 row_newbcast:4 row_mask:0xf bank_mask:0xf// 00000000BB3C: 10506CFA FF015411
	v_mul_u32_u24_dpp v41, v17, v54 row_newbcast:8 row_mask:0xf bank_mask:0xf// 00000000BB44: 10526CFA FF015811
	v_mul_u32_u24_dpp v42, v17, v54 row_newbcast:12 row_mask:0xf bank_mask:0xf// 00000000BB4C: 10546CFA FF015C11
	v_add_u32_e32 v23, v39, v6                                 // 00000000BB54: 682E0D27
	v_add_u32_e32 v24, v40, v6                                 // 00000000BB58: 68300D28
	v_add_u32_e32 v25, v41, v6                                 // 00000000BB5C: 68320D29
	v_add_u32_e32 v26, v42, v6                                 // 00000000BB60: 68340D2A
	v_mul_u32_u24_dpp v39, v17, v54 row_newbcast:1 row_mask:0xf bank_mask:0xf// 00000000BB64: 104E6CFA FF015111
	v_mul_u32_u24_dpp v40, v17, v54 row_newbcast:2 row_mask:0xf bank_mask:0xf// 00000000BB6C: 10506CFA FF015211
	v_mul_u32_u24_dpp v41, v17, v54 row_newbcast:5 row_mask:0xf bank_mask:0xf// 00000000BB74: 10526CFA FF015511
	v_mul_u32_u24_dpp v42, v17, v54 row_newbcast:6 row_mask:0xf bank_mask:0xf// 00000000BB7C: 10546CFA FF015611
	v_add_u32_e32 v192, v39, v7                                // 00000000BB84: 69800F27
	v_add_u32_e32 v193, v40, v7                                // 00000000BB88: 69820F28
	v_add_u32_e32 v194, v41, v7                                // 00000000BB8C: 69840F29
	v_add_u32_e32 v195, v42, v7                                // 00000000BB90: 69860F2A
	v_mul_u32_u24_dpp v39, v17, v54 row_newbcast:9 row_mask:0xf bank_mask:0xf// 00000000BB94: 104E6CFA FF015911
	v_mul_u32_u24_dpp v40, v17, v54 row_newbcast:10 row_mask:0xf bank_mask:0xf// 00000000BB9C: 10506CFA FF015A11
	v_mul_u32_u24_dpp v41, v17, v54 row_newbcast:13 row_mask:0xf bank_mask:0xf// 00000000BBA4: 10526CFA FF015D11
	v_mul_u32_u24_dpp v42, v17, v54 row_newbcast:7 row_mask:0xf bank_mask:0xf// 00000000BBAC: 10546CFA FF015711
	v_add_u32_e32 v196, v39, v7                                // 00000000BBB4: 69880F27
	v_add_u32_e32 v197, v40, v7                                // 00000000BBB8: 698A0F28
	v_add_u32_e32 v198, v41, v7                                // 00000000BBBC: 698C0F29
	v_add_u32_e32 v199, v42, v7                                // 00000000BBC0: 698E0F2A
	v_add_u32_e32 v1, s56, v1                                  // 00000000BBC4: 68020238
	s_addk_i32 s70, 0x100                                      // 00000000BBC8: B7460100
	s_cmp_lt_i32 s70, s71                                      // 00000000BBCC: BF044746
	s_cbranch_scc0 label_2344                                  // 00000000BBD0: BF84FCCE
	s_waitcnt vmcnt(16) lgkmcnt(0)                             // 00000000BBD4: BF8C4070
	v_mfma_f32_16x16x16_f16 v[112:115], a[64:65], v[80:81], 0  // 00000000BBD8: D3CD0070 0A02A140
	buffer_load_dwordx4 a[0:3], v23, s[16:19], 0 offen         // 00000000BBE0: E05C1000 80840017
	v_mfma_f32_16x16x16_f16 v[112:115], a[66:67], v[82:83], v[112:115]// 00000000BBE8: D3CD0070 0DC2A542
	v_mfma_f32_16x16x16_f16 v[112:115], a[68:69], v[84:85], v[112:115]// 00000000BBF0: D3CD0070 0DC2A944
	buffer_load_dword v18, v1, s[24:27], 0 offen               // 00000000BBF8: E0501000 80061201
	v_mfma_f32_16x16x16_f16 v[112:115], a[70:71], v[86:87], v[112:115]// 00000000BC00: D3CD0070 0DC2AD46
	v_mfma_f32_16x16x16_f16 v[112:115], a[72:73], v[88:89], v[112:115]// 00000000BC08: D3CD0070 0DC2B148
	buffer_load_dwordx4 a[4:7], v23, s[16:19], 0 offen offset:1024// 00000000BC10: E05C1400 80840417
	v_mfma_f32_16x16x16_f16 v[112:115], a[74:75], v[90:91], v[112:115]// 00000000BC18: D3CD0070 0DC2B54A
	v_mfma_f32_16x16x16_f16 v[112:115], a[76:77], v[92:93], v[112:115]// 00000000BC20: D3CD0070 0DC2B94C
	v_mfma_f32_16x16x16_f16 v[112:115], a[78:79], v[94:95], v[112:115]// 00000000BC28: D3CD0070 0DC2BD4E
	v_mfma_f32_16x16x16_f16 v[116:119], a[80:81], v[80:81], 0  // 00000000BC30: D3CD0074 0A02A150
	buffer_load_dwordx4 a[8:11], v23, s[16:19], 0 offen offset:2048// 00000000BC38: E05C1800 80840817
	v_mfma_f32_16x16x16_f16 v[116:119], a[82:83], v[82:83], v[116:119]// 00000000BC40: D3CD0074 0DD2A552
	v_mfma_f32_16x16x16_f16 v[116:119], a[84:85], v[84:85], v[116:119]// 00000000BC48: D3CD0074 0DD2A954
	v_mfma_f32_16x16x16_f16 v[116:119], a[86:87], v[86:87], v[116:119]// 00000000BC50: D3CD0074 0DD2AD56
	v_mfma_f32_16x16x16_f16 v[116:119], a[88:89], v[88:89], v[116:119]// 00000000BC58: D3CD0074 0DD2B158
	buffer_load_dwordx4 a[12:15], v23, s[16:19], 0 offen offset:3072// 00000000BC60: E05C1C00 80840C17
	v_mfma_f32_16x16x16_f16 v[116:119], a[90:91], v[90:91], v[116:119]// 00000000BC68: D3CD0074 0DD2B55A
	v_mfma_f32_16x16x16_f16 v[116:119], a[92:93], v[92:93], v[116:119]// 00000000BC70: D3CD0074 0DD2B95C
	v_mfma_f32_16x16x16_f16 v[116:119], a[94:95], v[94:95], v[116:119]// 00000000BC78: D3CD0074 0DD2BD5E
	v_mfma_f32_16x16x16_f16 v[120:123], a[96:97], v[80:81], 0  // 00000000BC80: D3CD0078 0A02A160
	buffer_load_dwordx4 a[16:19], v24, s[16:19], 0 offen       // 00000000BC88: E05C1000 80841018
	v_mfma_f32_16x16x16_f16 v[120:123], a[98:99], v[82:83], v[120:123]// 00000000BC90: D3CD0078 0DE2A562
	v_mfma_f32_16x16x16_f16 v[120:123], a[100:101], v[84:85], v[120:123]// 00000000BC98: D3CD0078 0DE2A964
	v_mfma_f32_16x16x16_f16 v[120:123], a[102:103], v[86:87], v[120:123]// 00000000BCA0: D3CD0078 0DE2AD66
	v_mfma_f32_16x16x16_f16 v[120:123], a[104:105], v[88:89], v[120:123]// 00000000BCA8: D3CD0078 0DE2B168
	buffer_load_dwordx4 a[20:23], v24, s[16:19], 0 offen offset:1024// 00000000BCB0: E05C1400 80841418
	v_mfma_f32_16x16x16_f16 v[120:123], a[106:107], v[90:91], v[120:123]// 00000000BCB8: D3CD0078 0DE2B56A
	v_mfma_f32_16x16x16_f16 v[120:123], a[108:109], v[92:93], v[120:123]// 00000000BCC0: D3CD0078 0DE2B96C
	v_mfma_f32_16x16x16_f16 v[120:123], a[110:111], v[94:95], v[120:123]// 00000000BCC8: D3CD0078 0DE2BD6E
	v_mfma_f32_16x16x16_f16 v[124:127], a[112:113], v[80:81], 0// 00000000BCD0: D3CD007C 0A02A170
	buffer_load_dwordx4 a[24:27], v24, s[16:19], 0 offen offset:2048// 00000000BCD8: E05C1800 80841818
	v_mfma_f32_16x16x16_f16 v[124:127], a[114:115], v[82:83], v[124:127]// 00000000BCE0: D3CD007C 0DF2A572
	v_mfma_f32_16x16x16_f16 v[124:127], a[116:117], v[84:85], v[124:127]// 00000000BCE8: D3CD007C 0DF2A974
	v_mfma_f32_16x16x16_f16 v[124:127], a[118:119], v[86:87], v[124:127]// 00000000BCF0: D3CD007C 0DF2AD76
	v_mfma_f32_16x16x16_f16 v[124:127], a[120:121], v[88:89], v[124:127]// 00000000BCF8: D3CD007C 0DF2B178
	buffer_load_dwordx4 a[28:31], v24, s[16:19], 0 offen offset:3072// 00000000BD00: E05C1C00 80841C18
	v_mfma_f32_16x16x16_f16 v[124:127], a[122:123], v[90:91], v[124:127]// 00000000BD08: D3CD007C 0DF2B57A
	v_mfma_f32_16x16x16_f16 v[124:127], a[124:125], v[92:93], v[124:127]// 00000000BD10: D3CD007C 0DF2B97C
	v_mfma_f32_16x16x16_f16 v[124:127], a[126:127], v[94:95], v[124:127]// 00000000BD18: D3CD007C 0DF2BD7E
	s_waitcnt vmcnt(16) lgkmcnt(0)                             // 00000000BD20: BF8C4070
	v_mfma_f32_16x16x16_f16 v[144:147], a[64:65], v[96:97], 0  // 00000000BD24: D3CD0090 0A02C140
	v_mfma_f32_16x16x16_f16 v[144:147], a[66:67], v[98:99], v[144:147]// 00000000BD2C: D3CD0090 0E42C542
	v_mfma_f32_16x16x16_f16 v[144:147], a[68:69], v[100:101], v[144:147]// 00000000BD34: D3CD0090 0E42C944
	v_mfma_f32_16x16x16_f16 v[144:147], a[70:71], v[102:103], v[144:147]// 00000000BD3C: D3CD0090 0E42CD46
	v_mfma_f32_16x16x16_f16 v[144:147], a[72:73], v[104:105], v[144:147]// 00000000BD44: D3CD0090 0E42D148
	v_mfma_f32_16x16x16_f16 v[144:147], a[74:75], v[106:107], v[144:147]// 00000000BD4C: D3CD0090 0E42D54A
	v_mfma_f32_16x16x16_f16 v[144:147], a[76:77], v[108:109], v[144:147]// 00000000BD54: D3CD0090 0E42D94C
	v_mfma_f32_16x16x16_f16 v[144:147], a[78:79], v[110:111], v[144:147]// 00000000BD5C: D3CD0090 0E42DD4E
	v_mfma_f32_16x16x16_f16 v[148:151], a[80:81], v[96:97], 0  // 00000000BD64: D3CD0094 0A02C150
	v_mfma_f32_16x16x16_f16 v[148:151], a[82:83], v[98:99], v[148:151]// 00000000BD6C: D3CD0094 0E52C552
	v_mfma_f32_16x16x16_f16 v[148:151], a[84:85], v[100:101], v[148:151]// 00000000BD74: D3CD0094 0E52C954
	v_mfma_f32_16x16x16_f16 v[148:151], a[86:87], v[102:103], v[148:151]// 00000000BD7C: D3CD0094 0E52CD56
	v_mfma_f32_16x16x16_f16 v[148:151], a[88:89], v[104:105], v[148:151]// 00000000BD84: D3CD0094 0E52D158
	v_mfma_f32_16x16x16_f16 v[148:151], a[90:91], v[106:107], v[148:151]// 00000000BD8C: D3CD0094 0E52D55A
	v_mfma_f32_16x16x16_f16 v[148:151], a[92:93], v[108:109], v[148:151]// 00000000BD94: D3CD0094 0E52D95C
	v_mfma_f32_16x16x16_f16 v[148:151], a[94:95], v[110:111], v[148:151]// 00000000BD9C: D3CD0094 0E52DD5E
	v_mfma_f32_16x16x16_f16 v[152:155], a[96:97], v[96:97], 0  // 00000000BDA4: D3CD0098 0A02C160
	v_mfma_f32_16x16x16_f16 v[152:155], a[98:99], v[98:99], v[152:155]// 00000000BDAC: D3CD0098 0E62C562
	v_mfma_f32_16x16x16_f16 v[152:155], a[100:101], v[100:101], v[152:155]// 00000000BDB4: D3CD0098 0E62C964
	v_mfma_f32_16x16x16_f16 v[152:155], a[102:103], v[102:103], v[152:155]// 00000000BDBC: D3CD0098 0E62CD66
	v_mfma_f32_16x16x16_f16 v[152:155], a[104:105], v[104:105], v[152:155]// 00000000BDC4: D3CD0098 0E62D168
	v_mfma_f32_16x16x16_f16 v[152:155], a[106:107], v[106:107], v[152:155]// 00000000BDCC: D3CD0098 0E62D56A
	v_mfma_f32_16x16x16_f16 v[152:155], a[108:109], v[108:109], v[152:155]// 00000000BDD4: D3CD0098 0E62D96C
	v_mfma_f32_16x16x16_f16 v[152:155], a[110:111], v[110:111], v[152:155]// 00000000BDDC: D3CD0098 0E62DD6E
	v_mfma_f32_16x16x16_f16 v[156:159], a[112:113], v[96:97], 0// 00000000BDE4: D3CD009C 0A02C170
	v_mfma_f32_16x16x16_f16 v[156:159], a[114:115], v[98:99], v[156:159]// 00000000BDEC: D3CD009C 0E72C572
	v_mfma_f32_16x16x16_f16 v[156:159], a[116:117], v[100:101], v[156:159]// 00000000BDF4: D3CD009C 0E72C974
	v_mfma_f32_16x16x16_f16 v[156:159], a[118:119], v[102:103], v[156:159]// 00000000BDFC: D3CD009C 0E72CD76
	v_mfma_f32_16x16x16_f16 v[156:159], a[120:121], v[104:105], v[156:159]// 00000000BE04: D3CD009C 0E72D178
	v_mfma_f32_16x16x16_f16 v[156:159], a[122:123], v[106:107], v[156:159]// 00000000BE0C: D3CD009C 0E72D57A
	v_mfma_f32_16x16x16_f16 v[156:159], a[124:125], v[108:109], v[156:159]// 00000000BE14: D3CD009C 0E72D97C
	v_mfma_f32_16x16x16_f16 v[156:159], a[126:127], v[110:111], v[156:159]// 00000000BE1C: D3CD009C 0E72DD7E
	buffer_load_dwordx4 a[32:35], v25, s[16:19], 0 offen       // 00000000BE24: E05C1000 80842019
	s_nop 8                                                    // 00000000BE2C: BF800008
	buffer_load_dwordx4 a[36:39], v25, s[16:19], 0 offen offset:1024// 00000000BE30: E05C1400 80842419
	v_mov_b32_e32 v50, v112                                    // 00000000BE38: 7E640370
	v_max3_f32 v50, v112, v113, v50                            // 00000000BE3C: D1D30032 04CAE370
	v_max3_f32 v50, v114, v115, v50                            // 00000000BE44: D1D30032 04CAE772
	v_max3_f32 v50, v116, v117, v50                            // 00000000BE4C: D1D30032 04CAEB74
	v_max3_f32 v50, v118, v119, v50                            // 00000000BE54: D1D30032 04CAEF76
	v_max3_f32 v50, v120, v121, v50                            // 00000000BE5C: D1D30032 04CAF378
	v_max3_f32 v50, v122, v123, v50                            // 00000000BE64: D1D30032 04CAF77A
	v_max3_f32 v50, v124, v125, v50                            // 00000000BE6C: D1D30032 04CAFB7C
	v_max3_f32 v50, v126, v127, v50                            // 00000000BE74: D1D30032 04CAFF7E
	ds_write_b32 v11, v50                                      // 00000000BE7C: D81A0000 0000320B
	buffer_load_dwordx4 a[40:43], v25, s[16:19], 0 offen offset:2048// 00000000BE84: E05C1800 80842819
	s_waitcnt lgkmcnt(0)                                       // 00000000BE8C: BF8CC07F
	s_barrier                                                  // 00000000BE90: BF8A0000
	ds_read_b32 v64, v10                                       // 00000000BE94: D86C0000 4000000A
	buffer_load_dwordx4 a[44:47], v25, s[16:19], 0 offen offset:3072// 00000000BE9C: E05C1C00 80842C19
	ds_read_b32 v65, v10 offset:64                             // 00000000BEA4: D86C0040 4100000A
	ds_read_b32 v66, v10 offset:128                            // 00000000BEAC: D86C0080 4200000A
	ds_read_b32 v67, v10 offset:192                            // 00000000BEB4: D86C00C0 4300000A
	ds_read_b32 v68, v10 offset:256                            // 00000000BEBC: D86C0100 4400000A
	ds_read_b32 v69, v10 offset:320                            // 00000000BEC4: D86C0140 4500000A
	ds_read_b32 v70, v10 offset:384                            // 00000000BECC: D86C0180 4600000A
	ds_read_b32 v71, v10 offset:448                            // 00000000BED4: D86C01C0 4700000A
	ds_read_b32 v72, v10 offset:512                            // 00000000BEDC: D86C0200 4800000A
	buffer_load_dwordx4 a[48:51], v26, s[16:19], 0 offen       // 00000000BEE4: E05C1000 8084301A
	ds_read_b32 v73, v10 offset:576                            // 00000000BEEC: D86C0240 4900000A
	ds_read_b32 v74, v10 offset:640                            // 00000000BEF4: D86C0280 4A00000A
	ds_read_b32 v75, v10 offset:704                            // 00000000BEFC: D86C02C0 4B00000A
	ds_read_b32 v76, v10 offset:768                            // 00000000BF04: D86C0300 4C00000A
	ds_read_b32 v77, v10 offset:832                            // 00000000BF0C: D86C0340 4D00000A
	ds_read_b32 v78, v10 offset:896                            // 00000000BF14: D86C0380 4E00000A
	ds_read_b32 v79, v10 offset:960                            // 00000000BF1C: D86C03C0 4F00000A
	buffer_load_dwordx4 a[52:55], v26, s[16:19], 0 offen offset:1024// 00000000BF24: E05C1400 8084341A
	buffer_load_dwordx4 a[56:59], v26, s[16:19], 0 offen offset:2048// 00000000BF2C: E05C1800 8084381A
	s_waitcnt lgkmcnt(0)                                       // 00000000BF34: BF8CC07F
	v_max3_f32 v50, v64, v65, v50                              // 00000000BF38: D1D30032 04CA8340
	v_max3_f32 v50, v66, v67, v50                              // 00000000BF40: D1D30032 04CA8742
	v_max3_f32 v50, v68, v69, v50                              // 00000000BF48: D1D30032 04CA8B44
	v_max3_f32 v50, v70, v71, v50                              // 00000000BF50: D1D30032 04CA8F46
	v_max3_f32 v50, v72, v73, v50                              // 00000000BF58: D1D30032 04CA9348
	v_max3_f32 v50, v74, v75, v50                              // 00000000BF60: D1D30032 04CA974A
	v_max3_f32 v50, v76, v77, v50                              // 00000000BF68: D1D30032 04CA9B4C
	v_max3_f32 v50, v78, v79, v50                              // 00000000BF70: D1D30032 04CA9F4E
	buffer_load_dwordx4 a[60:63], v26, s[16:19], 0 offen offset:3072// 00000000BF78: E05C1C00 80843C1A
	v_cmp_eq_u32_e64 s[40:41], v55, v14                        // 00000000BF80: D0CA0028 00021D37
	s_nop 1                                                    // 00000000BF88: BF800001
	v_max_f32_e32 v16, v50, v14                                // 00000000BF8C: 16201D32
	v_sub_f32_e32 v51, v14, v16                                // 00000000BF90: 0466210E
	v_cndmask_b32_e64 v51, v51, 0, s[40:41]                    // 00000000BF94: D1000033 00A10133
	v_mov_b32_e32 v14, v16                                     // 00000000BF9C: 7E1C0310
	v_mul_f32_e32 v53, s64, v16                                // 00000000BFA0: 0A6A2040
	v_mul_f32_e32 v51, s64, v51                                // 00000000BFA4: 0A666640
	v_exp_f32_e32 v51, v51                                     // 00000000BFA8: 7E664133
	buffer_load_dwordx4 a[128:131], v192, s[20:23], 0 offen    // 00000000BFAC: E05C1000 808580C0
	v_fma_f32 v112, v112, s64, -v53                            // 00000000BFB4: D1CB0070 84D48170
	v_fma_f32 v113, v113, s64, -v53                            // 00000000BFBC: D1CB0071 84D48171
	v_fma_f32 v114, v114, s64, -v53                            // 00000000BFC4: D1CB0072 84D48172
	v_fma_f32 v115, v115, s64, -v53                            // 00000000BFCC: D1CB0073 84D48173
	v_fma_f32 v116, v116, s64, -v53                            // 00000000BFD4: D1CB0074 84D48174
	v_fma_f32 v117, v117, s64, -v53                            // 00000000BFDC: D1CB0075 84D48175
	v_fma_f32 v118, v118, s64, -v53                            // 00000000BFE4: D1CB0076 84D48176
	v_fma_f32 v119, v119, s64, -v53                            // 00000000BFEC: D1CB0077 84D48177
	v_fma_f32 v120, v120, s64, -v53                            // 00000000BFF4: D1CB0078 84D48178
	v_fma_f32 v121, v121, s64, -v53                            // 00000000BFFC: D1CB0079 84D48179
	v_fma_f32 v122, v122, s64, -v53                            // 00000000C004: D1CB007A 84D4817A
	v_fma_f32 v123, v123, s64, -v53                            // 00000000C00C: D1CB007B 84D4817B
	v_fma_f32 v124, v124, s64, -v53                            // 00000000C014: D1CB007C 84D4817C
	v_fma_f32 v125, v125, s64, -v53                            // 00000000C01C: D1CB007D 84D4817D
	v_fma_f32 v126, v126, s64, -v53                            // 00000000C024: D1CB007E 84D4817E
	v_fma_f32 v127, v127, s64, -v53                            // 00000000C02C: D1CB007F 84D4817F
	v_exp_f32_e32 v112, v112                                   // 00000000C034: 7EE04170
	v_exp_f32_e32 v113, v113                                   // 00000000C038: 7EE24171
	v_exp_f32_e32 v114, v114                                   // 00000000C03C: 7EE44172
	v_exp_f32_e32 v115, v115                                   // 00000000C040: 7EE64173
	v_exp_f32_e32 v116, v116                                   // 00000000C044: 7EE84174
	v_exp_f32_e32 v117, v117                                   // 00000000C048: 7EEA4175
	v_exp_f32_e32 v118, v118                                   // 00000000C04C: 7EEC4176
	v_exp_f32_e32 v119, v119                                   // 00000000C050: 7EEE4177
	v_exp_f32_e32 v120, v120                                   // 00000000C054: 7EF04178
	v_exp_f32_e32 v121, v121                                   // 00000000C058: 7EF24179
	v_exp_f32_e32 v122, v122                                   // 00000000C05C: 7EF4417A
	v_exp_f32_e32 v123, v123                                   // 00000000C060: 7EF6417B
	v_exp_f32_e32 v124, v124                                   // 00000000C064: 7EF8417C
	v_exp_f32_e32 v125, v125                                   // 00000000C068: 7EFA417D
	v_exp_f32_e32 v126, v126                                   // 00000000C06C: 7EFC417E
	v_exp_f32_e32 v127, v127                                   // 00000000C070: 7EFE417F
	buffer_load_dwordx4 a[132:135], v193, s[20:23], 0 offen    // 00000000C074: E05C1000 808584C1
	v_mul_f32_e32 v43, v51, v43                                // 00000000C07C: 0A565733
	v_mov_b32_e32 v45, v112                                    // 00000000C080: 7E5A0370
	v_add_f32_e32 v45, v113, v45                               // 00000000C084: 025A5B71
	v_add_f32_e32 v45, v114, v45                               // 00000000C088: 025A5B72
	v_add_f32_e32 v45, v115, v45                               // 00000000C08C: 025A5B73
	v_add_f32_e32 v45, v116, v45                               // 00000000C090: 025A5B74
	v_add_f32_e32 v45, v117, v45                               // 00000000C094: 025A5B75
	v_add_f32_e32 v45, v118, v45                               // 00000000C098: 025A5B76
	v_add_f32_e32 v45, v119, v45                               // 00000000C09C: 025A5B77
	v_add_f32_e32 v45, v120, v45                               // 00000000C0A0: 025A5B78
	v_add_f32_e32 v45, v121, v45                               // 00000000C0A4: 025A5B79
	v_add_f32_e32 v45, v122, v45                               // 00000000C0A8: 025A5B7A
	v_add_f32_e32 v45, v123, v45                               // 00000000C0AC: 025A5B7B
	v_add_f32_e32 v45, v124, v45                               // 00000000C0B0: 025A5B7C
	v_add_f32_e32 v45, v125, v45                               // 00000000C0B4: 025A5B7D
	v_add_f32_e32 v45, v126, v45                               // 00000000C0B8: 025A5B7E
	v_add_f32_e32 v45, v127, v45                               // 00000000C0BC: 025A5B7F
	v_add_f32_e32 v43, v45, v43                                // 00000000C0C0: 0256572D
	buffer_load_dwordx4 a[136:139], v194, s[20:23], 0 offen    // 00000000C0C4: E05C1000 808588C2
	v_cvt_pkrtz_f16_f32 v39, v112, v113                        // 00000000C0CC: D2960027 0002E370
	v_mov_b32_e32 v112, v39                                    // 00000000C0D4: 7EE00327
	v_cvt_pkrtz_f16_f32 v39, v114, v115                        // 00000000C0D8: D2960027 0002E772
	v_mov_b32_e32 v113, v39                                    // 00000000C0E0: 7EE20327
	v_cvt_pkrtz_f16_f32 v39, v116, v117                        // 00000000C0E4: D2960027 0002EB74
	v_mov_b32_e32 v114, v39                                    // 00000000C0EC: 7EE40327
	v_cvt_pkrtz_f16_f32 v39, v118, v119                        // 00000000C0F0: D2960027 0002EF76
	v_mov_b32_e32 v115, v39                                    // 00000000C0F8: 7EE60327
	v_cvt_pkrtz_f16_f32 v39, v120, v121                        // 00000000C0FC: D2960027 0002F378
	v_mov_b32_e32 v116, v39                                    // 00000000C104: 7EE80327
	v_cvt_pkrtz_f16_f32 v39, v122, v123                        // 00000000C108: D2960027 0002F77A
	v_mov_b32_e32 v117, v39                                    // 00000000C110: 7EEA0327
	v_cvt_pkrtz_f16_f32 v39, v124, v125                        // 00000000C114: D2960027 0002FB7C
	v_mov_b32_e32 v118, v39                                    // 00000000C11C: 7EEC0327
	v_cvt_pkrtz_f16_f32 v39, v126, v127                        // 00000000C120: D2960027 0002FF7E
	v_mov_b32_e32 v119, v39                                    // 00000000C128: 7EEE0327
	buffer_load_dwordx4 a[140:143], v195, s[20:23], 0 offen    // 00000000C12C: E05C1000 80858CC3
	buffer_load_dwordx4 a[144:147], v196, s[20:23], 0 offen    // 00000000C134: E05C1000 808590C4
	ds_write_b64 v13, v[112:113] offset:4096                   // 00000000C13C: D89A1000 0000700D
	ds_write_b64 v13, v[114:115] offset:6144                   // 00000000C144: D89A1800 0000720D
	ds_write_b64 v13, v[116:117] offset:8192                   // 00000000C14C: D89A2000 0000740D
	ds_write_b64 v13, v[118:119] offset:10240                  // 00000000C154: D89A2800 0000760D
	buffer_load_dwordx4 a[148:151], v197, s[20:23], 0 offen    // 00000000C15C: E05C1000 808594C5
	s_waitcnt lgkmcnt(0)                                       // 00000000C164: BF8CC07F
	s_barrier                                                  // 00000000C168: BF8A0000
	ds_read_b64 v[112:113], v12 offset:4096                    // 00000000C16C: D8EC1000 7000000C
	ds_read_b64 v[114:115], v12 offset:4224                    // 00000000C174: D8EC1080 7200000C
	ds_read_b64 v[116:117], v12 offset:5120                    // 00000000C17C: D8EC1400 7400000C
	ds_read_b64 v[118:119], v12 offset:5248                    // 00000000C184: D8EC1480 7600000C
	ds_read_b64 v[120:121], v12 offset:6144                    // 00000000C18C: D8EC1800 7800000C
	ds_read_b64 v[122:123], v12 offset:6272                    // 00000000C194: D8EC1880 7A00000C
	ds_read_b64 v[124:125], v12 offset:7168                    // 00000000C19C: D8EC1C00 7C00000C
	ds_read_b64 v[126:127], v12 offset:7296                    // 00000000C1A4: D8EC1C80 7E00000C
	ds_read_b64 v[128:129], v12 offset:8192                    // 00000000C1AC: D8EC2000 8000000C
	ds_read_b64 v[130:131], v12 offset:8320                    // 00000000C1B4: D8EC2080 8200000C
	ds_read_b64 v[132:133], v12 offset:9216                    // 00000000C1BC: D8EC2400 8400000C
	ds_read_b64 v[134:135], v12 offset:9344                    // 00000000C1C4: D8EC2480 8600000C
	ds_read_b64 v[136:137], v12 offset:10240                   // 00000000C1CC: D8EC2800 8800000C
	ds_read_b64 v[138:139], v12 offset:10368                   // 00000000C1D4: D8EC2880 8A00000C
	ds_read_b64 v[140:141], v12 offset:11264                   // 00000000C1DC: D8EC2C00 8C00000C
	ds_read_b64 v[142:143], v12 offset:11392                   // 00000000C1E4: D8EC2C80 8E00000C
	buffer_load_dwordx4 a[152:155], v198, s[20:23], 0 offen    // 00000000C1EC: E05C1000 808598C6
	buffer_load_dwordx4 a[156:159], v199, s[20:23], 0 offen    // 00000000C1F4: E05C1000 80859CC7
	s_waitcnt lgkmcnt(0)                                       // 00000000C1FC: BF8CC07F
	s_nop 8                                                    // 00000000C200: BF800008
	v_mov_b32_e32 v50, v144                                    // 00000000C204: 7E640390
	v_max3_f32 v50, v144, v145, v50                            // 00000000C208: D1D30032 04CB2390
	v_max3_f32 v50, v146, v147, v50                            // 00000000C210: D1D30032 04CB2792
	v_max3_f32 v50, v148, v149, v50                            // 00000000C218: D1D30032 04CB2B94
	v_max3_f32 v50, v150, v151, v50                            // 00000000C220: D1D30032 04CB2F96
	v_max3_f32 v50, v152, v153, v50                            // 00000000C228: D1D30032 04CB3398
	v_max3_f32 v50, v154, v155, v50                            // 00000000C230: D1D30032 04CB379A
	v_max3_f32 v50, v156, v157, v50                            // 00000000C238: D1D30032 04CB3B9C
	v_max3_f32 v50, v158, v159, v50                            // 00000000C240: D1D30032 04CB3F9E
	ds_write_b32 v11, v50                                      // 00000000C248: D81A0000 0000320B
	s_waitcnt lgkmcnt(0)                                       // 00000000C250: BF8CC07F
	s_barrier                                                  // 00000000C254: BF8A0000
	ds_read_b32 v64, v10                                       // 00000000C258: D86C0000 4000000A
	ds_read_b32 v65, v10 offset:64                             // 00000000C260: D86C0040 4100000A
	ds_read_b32 v66, v10 offset:128                            // 00000000C268: D86C0080 4200000A
	ds_read_b32 v67, v10 offset:192                            // 00000000C270: D86C00C0 4300000A
	ds_read_b32 v68, v10 offset:256                            // 00000000C278: D86C0100 4400000A
	ds_read_b32 v69, v10 offset:320                            // 00000000C280: D86C0140 4500000A
	ds_read_b32 v70, v10 offset:384                            // 00000000C288: D86C0180 4600000A
	ds_read_b32 v71, v10 offset:448                            // 00000000C290: D86C01C0 4700000A
	ds_read_b32 v72, v10 offset:512                            // 00000000C298: D86C0200 4800000A
	ds_read_b32 v73, v10 offset:576                            // 00000000C2A0: D86C0240 4900000A
	ds_read_b32 v74, v10 offset:640                            // 00000000C2A8: D86C0280 4A00000A
	ds_read_b32 v75, v10 offset:704                            // 00000000C2B0: D86C02C0 4B00000A
	ds_read_b32 v76, v10 offset:768                            // 00000000C2B8: D86C0300 4C00000A
	ds_read_b32 v77, v10 offset:832                            // 00000000C2C0: D86C0340 4D00000A
	ds_read_b32 v78, v10 offset:896                            // 00000000C2C8: D86C0380 4E00000A
	ds_read_b32 v79, v10 offset:960                            // 00000000C2D0: D86C03C0 4F00000A
	s_waitcnt lgkmcnt(0)                                       // 00000000C2D8: BF8CC07F
	v_max3_f32 v50, v64, v65, v50                              // 00000000C2DC: D1D30032 04CA8340
	v_max3_f32 v50, v66, v67, v50                              // 00000000C2E4: D1D30032 04CA8742
	v_max3_f32 v50, v68, v69, v50                              // 00000000C2EC: D1D30032 04CA8B44
	v_max3_f32 v50, v70, v71, v50                              // 00000000C2F4: D1D30032 04CA8F46
	v_max3_f32 v50, v72, v73, v50                              // 00000000C2FC: D1D30032 04CA9348
	v_max3_f32 v50, v74, v75, v50                              // 00000000C304: D1D30032 04CA974A
	v_max3_f32 v50, v76, v77, v50                              // 00000000C30C: D1D30032 04CA9B4C
	v_max3_f32 v50, v78, v79, v50                              // 00000000C314: D1D30032 04CA9F4E
	v_cmp_eq_u32_e64 s[40:41], v55, v15                        // 00000000C31C: D0CA0028 00021F37
	s_nop 1                                                    // 00000000C324: BF800001
	v_max_f32_e32 v16, v50, v15                                // 00000000C328: 16201F32
	v_sub_f32_e32 v52, v15, v16                                // 00000000C32C: 0468210F
	v_cndmask_b32_e64 v52, v52, 0, s[40:41]                    // 00000000C330: D1000034 00A10134
	v_mov_b32_e32 v15, v16                                     // 00000000C338: 7E1E0310
	v_mul_f32_e32 v53, s64, v16                                // 00000000C33C: 0A6A2040
	v_mul_f32_e32 v52, s64, v52                                // 00000000C340: 0A686840
	v_exp_f32_e32 v52, v52                                     // 00000000C344: 7E684134
	v_fma_f32 v144, v144, s64, -v53                            // 00000000C348: D1CB0090 84D48190
	v_fma_f32 v145, v145, s64, -v53                            // 00000000C350: D1CB0091 84D48191
	v_fma_f32 v146, v146, s64, -v53                            // 00000000C358: D1CB0092 84D48192
	v_fma_f32 v147, v147, s64, -v53                            // 00000000C360: D1CB0093 84D48193
	v_fma_f32 v148, v148, s64, -v53                            // 00000000C368: D1CB0094 84D48194
	v_fma_f32 v149, v149, s64, -v53                            // 00000000C370: D1CB0095 84D48195
	v_fma_f32 v150, v150, s64, -v53                            // 00000000C378: D1CB0096 84D48196
	v_fma_f32 v151, v151, s64, -v53                            // 00000000C380: D1CB0097 84D48197
	v_fma_f32 v152, v152, s64, -v53                            // 00000000C388: D1CB0098 84D48198
	v_fma_f32 v153, v153, s64, -v53                            // 00000000C390: D1CB0099 84D48199
	v_fma_f32 v154, v154, s64, -v53                            // 00000000C398: D1CB009A 84D4819A
	v_fma_f32 v155, v155, s64, -v53                            // 00000000C3A0: D1CB009B 84D4819B
	v_fma_f32 v156, v156, s64, -v53                            // 00000000C3A8: D1CB009C 84D4819C
	v_fma_f32 v157, v157, s64, -v53                            // 00000000C3B0: D1CB009D 84D4819D
	v_fma_f32 v158, v158, s64, -v53                            // 00000000C3B8: D1CB009E 84D4819E
	v_fma_f32 v159, v159, s64, -v53                            // 00000000C3C0: D1CB009F 84D4819F
	v_exp_f32_e32 v144, v144                                   // 00000000C3C8: 7F204190
	v_exp_f32_e32 v145, v145                                   // 00000000C3CC: 7F224191
	v_exp_f32_e32 v146, v146                                   // 00000000C3D0: 7F244192
	v_exp_f32_e32 v147, v147                                   // 00000000C3D4: 7F264193
	v_exp_f32_e32 v148, v148                                   // 00000000C3D8: 7F284194
	v_exp_f32_e32 v149, v149                                   // 00000000C3DC: 7F2A4195
	v_exp_f32_e32 v150, v150                                   // 00000000C3E0: 7F2C4196
	v_exp_f32_e32 v151, v151                                   // 00000000C3E4: 7F2E4197
	v_exp_f32_e32 v152, v152                                   // 00000000C3E8: 7F304198
	v_exp_f32_e32 v153, v153                                   // 00000000C3EC: 7F324199
	v_exp_f32_e32 v154, v154                                   // 00000000C3F0: 7F34419A
	v_exp_f32_e32 v155, v155                                   // 00000000C3F4: 7F36419B
	v_exp_f32_e32 v156, v156                                   // 00000000C3F8: 7F38419C
	v_exp_f32_e32 v157, v157                                   // 00000000C3FC: 7F3A419D
	v_exp_f32_e32 v158, v158                                   // 00000000C400: 7F3C419E
	v_exp_f32_e32 v159, v159                                   // 00000000C404: 7F3E419F
	v_mul_f32_e32 v44, v52, v44                                // 00000000C408: 0A585934
	v_mov_b32_e32 v45, v144                                    // 00000000C40C: 7E5A0390
	v_add_f32_e32 v45, v145, v45                               // 00000000C410: 025A5B91
	v_add_f32_e32 v45, v146, v45                               // 00000000C414: 025A5B92
	v_add_f32_e32 v45, v147, v45                               // 00000000C418: 025A5B93
	v_add_f32_e32 v45, v148, v45                               // 00000000C41C: 025A5B94
	v_add_f32_e32 v45, v149, v45                               // 00000000C420: 025A5B95
	v_add_f32_e32 v45, v150, v45                               // 00000000C424: 025A5B96
	v_add_f32_e32 v45, v151, v45                               // 00000000C428: 025A5B97
	v_add_f32_e32 v45, v152, v45                               // 00000000C42C: 025A5B98
	v_add_f32_e32 v45, v153, v45                               // 00000000C430: 025A5B99
	v_add_f32_e32 v45, v154, v45                               // 00000000C434: 025A5B9A
	v_add_f32_e32 v45, v155, v45                               // 00000000C438: 025A5B9B
	v_add_f32_e32 v45, v156, v45                               // 00000000C43C: 025A5B9C
	v_add_f32_e32 v45, v157, v45                               // 00000000C440: 025A5B9D
	v_add_f32_e32 v45, v158, v45                               // 00000000C444: 025A5B9E
	v_add_f32_e32 v45, v159, v45                               // 00000000C448: 025A5B9F
	v_add_f32_e32 v44, v45, v44                                // 00000000C44C: 0258592D
	v_cvt_pkrtz_f16_f32 v39, v144, v145                        // 00000000C450: D2960027 00032390
	v_mov_b32_e32 v144, v39                                    // 00000000C458: 7F200327
	v_cvt_pkrtz_f16_f32 v39, v146, v147                        // 00000000C45C: D2960027 00032792
	v_mov_b32_e32 v145, v39                                    // 00000000C464: 7F220327
	v_cvt_pkrtz_f16_f32 v39, v148, v149                        // 00000000C468: D2960027 00032B94
	v_mov_b32_e32 v146, v39                                    // 00000000C470: 7F240327
	v_cvt_pkrtz_f16_f32 v39, v150, v151                        // 00000000C474: D2960027 00032F96
	v_mov_b32_e32 v147, v39                                    // 00000000C47C: 7F260327
	v_cvt_pkrtz_f16_f32 v39, v152, v153                        // 00000000C480: D2960027 00033398
	v_mov_b32_e32 v148, v39                                    // 00000000C488: 7F280327
	v_cvt_pkrtz_f16_f32 v39, v154, v155                        // 00000000C48C: D2960027 0003379A
	v_mov_b32_e32 v149, v39                                    // 00000000C494: 7F2A0327
	v_cvt_pkrtz_f16_f32 v39, v156, v157                        // 00000000C498: D2960027 00033B9C
	v_mov_b32_e32 v150, v39                                    // 00000000C4A0: 7F2C0327
	v_cvt_pkrtz_f16_f32 v39, v158, v159                        // 00000000C4A4: D2960027 00033F9E
	v_mov_b32_e32 v151, v39                                    // 00000000C4AC: 7F2E0327
	ds_write_b64 v13, v[144:145] offset:4096                   // 00000000C4B0: D89A1000 0000900D
	ds_write_b64 v13, v[146:147] offset:6144                   // 00000000C4B8: D89A1800 0000920D
	ds_write_b64 v13, v[148:149] offset:8192                   // 00000000C4C0: D89A2000 0000940D
	ds_write_b64 v13, v[150:151] offset:10240                  // 00000000C4C8: D89A2800 0000960D
	s_waitcnt lgkmcnt(0)                                       // 00000000C4D0: BF8CC07F
	s_barrier                                                  // 00000000C4D4: BF8A0000
	ds_read_b64 v[144:145], v12 offset:4096                    // 00000000C4D8: D8EC1000 9000000C
	ds_read_b64 v[146:147], v12 offset:4224                    // 00000000C4E0: D8EC1080 9200000C
	ds_read_b64 v[148:149], v12 offset:5120                    // 00000000C4E8: D8EC1400 9400000C
	ds_read_b64 v[150:151], v12 offset:5248                    // 00000000C4F0: D8EC1480 9600000C
	ds_read_b64 v[152:153], v12 offset:6144                    // 00000000C4F8: D8EC1800 9800000C
	ds_read_b64 v[154:155], v12 offset:6272                    // 00000000C500: D8EC1880 9A00000C
	ds_read_b64 v[156:157], v12 offset:7168                    // 00000000C508: D8EC1C00 9C00000C
	ds_read_b64 v[158:159], v12 offset:7296                    // 00000000C510: D8EC1C80 9E00000C
	ds_read_b64 v[160:161], v12 offset:8192                    // 00000000C518: D8EC2000 A000000C
	ds_read_b64 v[162:163], v12 offset:8320                    // 00000000C520: D8EC2080 A200000C
	ds_read_b64 v[164:165], v12 offset:9216                    // 00000000C528: D8EC2400 A400000C
	ds_read_b64 v[166:167], v12 offset:9344                    // 00000000C530: D8EC2480 A600000C
	ds_read_b64 v[168:169], v12 offset:10240                   // 00000000C538: D8EC2800 A800000C
	ds_read_b64 v[170:171], v12 offset:10368                   // 00000000C540: D8EC2880 AA00000C
	ds_read_b64 v[172:173], v12 offset:11264                   // 00000000C548: D8EC2C00 AC00000C
	ds_read_b64 v[174:175], v12 offset:11392                   // 00000000C550: D8EC2C80 AE00000C
	s_waitcnt lgkmcnt(0)                                       // 00000000C558: BF8CC07F
	v_mul_f32_e32 v176, v51, v176                              // 00000000C55C: 0B616133
	v_mul_f32_e32 v177, v51, v177                              // 00000000C560: 0B636333
	v_mul_f32_e32 v178, v51, v178                              // 00000000C564: 0B656533
	v_mul_f32_e32 v179, v51, v179                              // 00000000C568: 0B676733
	v_mul_f32_e32 v180, v51, v180                              // 00000000C56C: 0B696933
	v_mul_f32_e32 v181, v51, v181                              // 00000000C570: 0B6B6B33
	v_mul_f32_e32 v182, v51, v182                              // 00000000C574: 0B6D6D33
	v_mul_f32_e32 v183, v51, v183                              // 00000000C578: 0B6F6F33
	v_mul_f32_e32 v184, v52, v184                              // 00000000C57C: 0B717134
	v_mul_f32_e32 v185, v52, v185                              // 00000000C580: 0B737334
	v_mul_f32_e32 v186, v52, v186                              // 00000000C584: 0B757534
	v_mul_f32_e32 v187, v52, v187                              // 00000000C588: 0B777734
	v_mul_f32_e32 v188, v52, v188                              // 00000000C58C: 0B797934
	v_mul_f32_e32 v189, v52, v189                              // 00000000C590: 0B7B7B34
	v_mul_f32_e32 v190, v52, v190                              // 00000000C594: 0B7D7D34
	v_mul_f32_e32 v191, v52, v191                              // 00000000C598: 0B7F7F34
	s_waitcnt vmcnt(24)                                        // 00000000C59C: BF8C4F78
	v_mfma_f32_16x16x16_f16 v[176:179], a[192:193], v[112:113], v[176:179]// 00000000C5A0: D3CD00B0 0EC2E1C0
	buffer_load_dwordx4 a[160:163], v192, s[20:23], 0 offen offset:1024// 00000000C5A8: E05C1400 8085A0C0
	v_mfma_f32_16x16x16_f16 v[176:179], a[194:195], v[114:115], v[176:179]// 00000000C5B0: D3CD00B0 0EC2E5C2
	v_mfma_f32_16x16x16_f16 v[176:179], a[196:197], v[116:117], v[176:179]// 00000000C5B8: D3CD00B0 0EC2E9C4
	v_mfma_f32_16x16x16_f16 v[176:179], a[198:199], v[118:119], v[176:179]// 00000000C5C0: D3CD00B0 0EC2EDC6
	v_mfma_f32_16x16x16_f16 v[176:179], a[200:201], v[120:121], v[176:179]// 00000000C5C8: D3CD00B0 0EC2F1C8
	buffer_load_dwordx4 a[164:167], v193, s[20:23], 0 offen offset:1024// 00000000C5D0: E05C1400 8085A4C1
	v_mfma_f32_16x16x16_f16 v[176:179], a[202:203], v[122:123], v[176:179]// 00000000C5D8: D3CD00B0 0EC2F5CA
	v_mfma_f32_16x16x16_f16 v[176:179], a[204:205], v[124:125], v[176:179]// 00000000C5E0: D3CD00B0 0EC2F9CC
	v_mfma_f32_16x16x16_f16 v[176:179], a[206:207], v[126:127], v[176:179]// 00000000C5E8: D3CD00B0 0EC2FDCE
	v_mfma_f32_16x16x16_f16 v[176:179], a[208:209], v[128:129], v[176:179]// 00000000C5F0: D3CD00B0 0EC301D0
	buffer_load_dwordx4 a[168:171], v194, s[20:23], 0 offen offset:1024// 00000000C5F8: E05C1400 8085A8C2
	v_mfma_f32_16x16x16_f16 v[176:179], a[210:211], v[130:131], v[176:179]// 00000000C600: D3CD00B0 0EC305D2
	v_mfma_f32_16x16x16_f16 v[176:179], a[212:213], v[132:133], v[176:179]// 00000000C608: D3CD00B0 0EC309D4
	v_mfma_f32_16x16x16_f16 v[176:179], a[214:215], v[134:135], v[176:179]// 00000000C610: D3CD00B0 0EC30DD6
	v_mfma_f32_16x16x16_f16 v[176:179], a[216:217], v[136:137], v[176:179]// 00000000C618: D3CD00B0 0EC311D8
	buffer_load_dwordx4 a[172:175], v195, s[20:23], 0 offen offset:1024// 00000000C620: E05C1400 8085ACC3
	v_mfma_f32_16x16x16_f16 v[176:179], a[218:219], v[138:139], v[176:179]// 00000000C628: D3CD00B0 0EC315DA
	v_mfma_f32_16x16x16_f16 v[176:179], a[220:221], v[140:141], v[176:179]// 00000000C630: D3CD00B0 0EC319DC
	v_mfma_f32_16x16x16_f16 v[176:179], a[222:223], v[142:143], v[176:179]// 00000000C638: D3CD00B0 0EC31DDE
	v_mfma_f32_16x16x16_f16 v[180:183], a[224:225], v[112:113], v[180:183]// 00000000C640: D3CD00B4 0ED2E1E0
	buffer_load_dwordx4 a[176:179], v196, s[20:23], 0 offen offset:1024// 00000000C648: E05C1400 8085B0C4
	v_mfma_f32_16x16x16_f16 v[180:183], a[226:227], v[114:115], v[180:183]// 00000000C650: D3CD00B4 0ED2E5E2
	v_mfma_f32_16x16x16_f16 v[180:183], a[228:229], v[116:117], v[180:183]// 00000000C658: D3CD00B4 0ED2E9E4
	v_mfma_f32_16x16x16_f16 v[180:183], a[230:231], v[118:119], v[180:183]// 00000000C660: D3CD00B4 0ED2EDE6
	v_mfma_f32_16x16x16_f16 v[180:183], a[232:233], v[120:121], v[180:183]// 00000000C668: D3CD00B4 0ED2F1E8
	buffer_load_dwordx4 a[180:183], v197, s[20:23], 0 offen offset:1024// 00000000C670: E05C1400 8085B4C5
	v_mfma_f32_16x16x16_f16 v[180:183], a[234:235], v[122:123], v[180:183]// 00000000C678: D3CD00B4 0ED2F5EA
	v_mfma_f32_16x16x16_f16 v[180:183], a[236:237], v[124:125], v[180:183]// 00000000C680: D3CD00B4 0ED2F9EC
	v_mfma_f32_16x16x16_f16 v[180:183], a[238:239], v[126:127], v[180:183]// 00000000C688: D3CD00B4 0ED2FDEE
	v_mfma_f32_16x16x16_f16 v[180:183], a[240:241], v[128:129], v[180:183]// 00000000C690: D3CD00B4 0ED301F0
	buffer_load_dwordx4 a[184:187], v198, s[20:23], 0 offen offset:1024// 00000000C698: E05C1400 8085B8C6
	v_mfma_f32_16x16x16_f16 v[180:183], a[242:243], v[130:131], v[180:183]// 00000000C6A0: D3CD00B4 0ED305F2
	v_mfma_f32_16x16x16_f16 v[180:183], a[244:245], v[132:133], v[180:183]// 00000000C6A8: D3CD00B4 0ED309F4
	v_mfma_f32_16x16x16_f16 v[180:183], a[246:247], v[134:135], v[180:183]// 00000000C6B0: D3CD00B4 0ED30DF6
	v_mfma_f32_16x16x16_f16 v[180:183], a[248:249], v[136:137], v[180:183]// 00000000C6B8: D3CD00B4 0ED311F8
	buffer_load_dwordx4 a[188:191], v199, s[20:23], 0 offen offset:1024// 00000000C6C0: E05C1400 8085BCC7
	v_mfma_f32_16x16x16_f16 v[180:183], a[250:251], v[138:139], v[180:183]// 00000000C6C8: D3CD00B4 0ED315FA
	v_mfma_f32_16x16x16_f16 v[180:183], a[252:253], v[140:141], v[180:183]// 00000000C6D0: D3CD00B4 0ED319FC
	v_mfma_f32_16x16x16_f16 v[180:183], a[254:255], v[142:143], v[180:183]// 00000000C6D8: D3CD00B4 0ED31DFE
	v_mfma_f32_16x16x16_f16 v[184:187], a[192:193], v[144:145], v[184:187]// 00000000C6E0: D3CD00B8 0EE321C0
	v_mfma_f32_16x16x16_f16 v[184:187], a[194:195], v[146:147], v[184:187]// 00000000C6E8: D3CD00B8 0EE325C2
	v_mfma_f32_16x16x16_f16 v[184:187], a[196:197], v[148:149], v[184:187]// 00000000C6F0: D3CD00B8 0EE329C4
	v_mfma_f32_16x16x16_f16 v[184:187], a[198:199], v[150:151], v[184:187]// 00000000C6F8: D3CD00B8 0EE32DC6
	v_mfma_f32_16x16x16_f16 v[184:187], a[200:201], v[152:153], v[184:187]// 00000000C700: D3CD00B8 0EE331C8
	v_mfma_f32_16x16x16_f16 v[184:187], a[202:203], v[154:155], v[184:187]// 00000000C708: D3CD00B8 0EE335CA
	v_mfma_f32_16x16x16_f16 v[184:187], a[204:205], v[156:157], v[184:187]// 00000000C710: D3CD00B8 0EE339CC
	v_mfma_f32_16x16x16_f16 v[184:187], a[206:207], v[158:159], v[184:187]// 00000000C718: D3CD00B8 0EE33DCE
	v_mfma_f32_16x16x16_f16 v[184:187], a[208:209], v[160:161], v[184:187]// 00000000C720: D3CD00B8 0EE341D0
	v_mfma_f32_16x16x16_f16 v[184:187], a[210:211], v[162:163], v[184:187]// 00000000C728: D3CD00B8 0EE345D2
	v_mfma_f32_16x16x16_f16 v[184:187], a[212:213], v[164:165], v[184:187]// 00000000C730: D3CD00B8 0EE349D4
	v_mfma_f32_16x16x16_f16 v[184:187], a[214:215], v[166:167], v[184:187]// 00000000C738: D3CD00B8 0EE34DD6
	v_mfma_f32_16x16x16_f16 v[184:187], a[216:217], v[168:169], v[184:187]// 00000000C740: D3CD00B8 0EE351D8
	v_mfma_f32_16x16x16_f16 v[184:187], a[218:219], v[170:171], v[184:187]// 00000000C748: D3CD00B8 0EE355DA
	v_mfma_f32_16x16x16_f16 v[184:187], a[220:221], v[172:173], v[184:187]// 00000000C750: D3CD00B8 0EE359DC
	v_mfma_f32_16x16x16_f16 v[184:187], a[222:223], v[174:175], v[184:187]// 00000000C758: D3CD00B8 0EE35DDE
	v_mfma_f32_16x16x16_f16 v[188:191], a[224:225], v[144:145], v[188:191]// 00000000C760: D3CD00BC 0EF321E0
	v_mfma_f32_16x16x16_f16 v[188:191], a[226:227], v[146:147], v[188:191]// 00000000C768: D3CD00BC 0EF325E2
	v_mfma_f32_16x16x16_f16 v[188:191], a[228:229], v[148:149], v[188:191]// 00000000C770: D3CD00BC 0EF329E4
	v_mfma_f32_16x16x16_f16 v[188:191], a[230:231], v[150:151], v[188:191]// 00000000C778: D3CD00BC 0EF32DE6
	v_mfma_f32_16x16x16_f16 v[188:191], a[232:233], v[152:153], v[188:191]// 00000000C780: D3CD00BC 0EF331E8
	v_mfma_f32_16x16x16_f16 v[188:191], a[234:235], v[154:155], v[188:191]// 00000000C788: D3CD00BC 0EF335EA
	v_mfma_f32_16x16x16_f16 v[188:191], a[236:237], v[156:157], v[188:191]// 00000000C790: D3CD00BC 0EF339EC
	v_mfma_f32_16x16x16_f16 v[188:191], a[238:239], v[158:159], v[188:191]// 00000000C798: D3CD00BC 0EF33DEE
	v_mfma_f32_16x16x16_f16 v[188:191], a[240:241], v[160:161], v[188:191]// 00000000C7A0: D3CD00BC 0EF341F0
	v_mfma_f32_16x16x16_f16 v[188:191], a[242:243], v[162:163], v[188:191]// 00000000C7A8: D3CD00BC 0EF345F2
	v_mfma_f32_16x16x16_f16 v[188:191], a[244:245], v[164:165], v[188:191]// 00000000C7B0: D3CD00BC 0EF349F4
	v_mfma_f32_16x16x16_f16 v[188:191], a[246:247], v[166:167], v[188:191]// 00000000C7B8: D3CD00BC 0EF34DF6
	v_mfma_f32_16x16x16_f16 v[188:191], a[248:249], v[168:169], v[188:191]// 00000000C7C0: D3CD00BC 0EF351F8
	v_mfma_f32_16x16x16_f16 v[188:191], a[250:251], v[170:171], v[188:191]// 00000000C7C8: D3CD00BC 0EF355FA
	v_mfma_f32_16x16x16_f16 v[188:191], a[252:253], v[172:173], v[188:191]// 00000000C7D0: D3CD00BC 0EF359FC
	v_mfma_f32_16x16x16_f16 v[188:191], a[254:255], v[174:175], v[188:191]// 00000000C7D8: D3CD00BC 0EF35DFE
	s_lshr_b32 s60, s70, 4                                     // 00000000C7E0: 8F3C8446
	s_add_u32 s60, 48, s60                                     // 00000000C7E4: 803C3CB0
	s_cmp_ge_u32 s60, s73                                      // 00000000C7E8: BF09493C
	s_cselect_b32 s56, 0, s56                                  // 00000000C7EC: 85383880
	v_mul_u32_u24_dpp v39, v18, v54 row_newbcast:0 row_mask:0xf bank_mask:0xf// 00000000C7F0: 104E6CFA FF015012
	v_mul_u32_u24_dpp v40, v18, v54 row_newbcast:4 row_mask:0xf bank_mask:0xf// 00000000C7F8: 10506CFA FF015412
	v_mul_u32_u24_dpp v41, v18, v54 row_newbcast:8 row_mask:0xf bank_mask:0xf// 00000000C800: 10526CFA FF015812
	v_mul_u32_u24_dpp v42, v18, v54 row_newbcast:12 row_mask:0xf bank_mask:0xf// 00000000C808: 10546CFA FF015C12
	v_add_u32_e32 v27, v39, v6                                 // 00000000C810: 68360D27
	v_add_u32_e32 v28, v40, v6                                 // 00000000C814: 68380D28
	v_add_u32_e32 v29, v41, v6                                 // 00000000C818: 683A0D29
	v_add_u32_e32 v30, v42, v6                                 // 00000000C81C: 683C0D2A
	v_mul_u32_u24_dpp v39, v18, v54 row_newbcast:1 row_mask:0xf bank_mask:0xf// 00000000C820: 104E6CFA FF015112
	v_mul_u32_u24_dpp v40, v18, v54 row_newbcast:2 row_mask:0xf bank_mask:0xf// 00000000C828: 10506CFA FF015212
	v_mul_u32_u24_dpp v41, v18, v54 row_newbcast:5 row_mask:0xf bank_mask:0xf// 00000000C830: 10526CFA FF015512
	v_mul_u32_u24_dpp v42, v18, v54 row_newbcast:6 row_mask:0xf bank_mask:0xf// 00000000C838: 10546CFA FF015612
	v_add_u32_e32 v200, v39, v7                                // 00000000C840: 69900F27
	v_add_u32_e32 v201, v40, v7                                // 00000000C844: 69920F28
	v_add_u32_e32 v202, v41, v7                                // 00000000C848: 69940F29
	v_add_u32_e32 v203, v42, v7                                // 00000000C84C: 69960F2A
	v_mul_u32_u24_dpp v39, v18, v54 row_newbcast:9 row_mask:0xf bank_mask:0xf// 00000000C850: 104E6CFA FF015912
	v_mul_u32_u24_dpp v40, v18, v54 row_newbcast:10 row_mask:0xf bank_mask:0xf// 00000000C858: 10506CFA FF015A12
	v_mul_u32_u24_dpp v41, v18, v54 row_newbcast:13 row_mask:0xf bank_mask:0xf// 00000000C860: 10526CFA FF015D12
	v_mul_u32_u24_dpp v42, v18, v54 row_newbcast:7 row_mask:0xf bank_mask:0xf// 00000000C868: 10546CFA FF015712
	v_add_u32_e32 v204, v39, v7                                // 00000000C870: 69980F27
	v_add_u32_e32 v205, v40, v7                                // 00000000C874: 699A0F28
	v_add_u32_e32 v206, v41, v7                                // 00000000C878: 699C0F29
	v_add_u32_e32 v207, v42, v7                                // 00000000C87C: 699E0F2A
	v_add_u32_e32 v1, s56, v1                                  // 00000000C880: 68020238
	s_addk_i32 s70, 0x100                                      // 00000000C884: B7460100
	s_cmp_lt_i32 s70, s71                                      // 00000000C888: BF044746
	s_cbranch_scc0 label_2344                                  // 00000000C88C: BF84F99F
	s_branch label_2347                                        // 00000000C890: BF82F9A1

000000000000c894 <label_29A6>:
	s_lshr_b32 s60, s71, 4                                     // 00000000C894: 8F3C8447
	s_cmp_eq_i32 s60, s73                                      // 00000000C898: BF00493C
	s_cbranch_scc1 label_30E3                                  // 00000000C89C: BF85073A

000000000000c8a0 <label_29A9>:
	s_lshr_b32 s60, s71, 8                                     // 00000000C8A0: 8F3C8847
	s_and_b32 s60, s60, 1                                      // 00000000C8A4: 863C813C
	s_cmp_eq_i32 s60, 1                                        // 00000000C8A8: BF00813C
	s_cbranch_scc1 label_2D48                                  // 00000000C8AC: BF85039B
	s_waitcnt vmcnt(16) lgkmcnt(0)                             // 00000000C8B0: BF8C4070
	s_barrier                                                  // 00000000C8B4: BF8A0000
	v_mfma_f32_16x16x16_f16 v[112:115], a[0:1], v[80:81], 0    // 00000000C8B8: D3CD0070 0A02A100
	v_mfma_f32_16x16x16_f16 v[112:115], a[2:3], v[82:83], v[112:115]// 00000000C8C0: D3CD0070 0DC2A502
	v_mfma_f32_16x16x16_f16 v[112:115], a[4:5], v[84:85], v[112:115]// 00000000C8C8: D3CD0070 0DC2A904
	v_mfma_f32_16x16x16_f16 v[112:115], a[6:7], v[86:87], v[112:115]// 00000000C8D0: D3CD0070 0DC2AD06
	v_mfma_f32_16x16x16_f16 v[112:115], a[8:9], v[88:89], v[112:115]// 00000000C8D8: D3CD0070 0DC2B108
	v_mfma_f32_16x16x16_f16 v[112:115], a[10:11], v[90:91], v[112:115]// 00000000C8E0: D3CD0070 0DC2B50A
	v_mfma_f32_16x16x16_f16 v[112:115], a[12:13], v[92:93], v[112:115]// 00000000C8E8: D3CD0070 0DC2B90C
	v_mfma_f32_16x16x16_f16 v[112:115], a[14:15], v[94:95], v[112:115]// 00000000C8F0: D3CD0070 0DC2BD0E
	v_mfma_f32_16x16x16_f16 v[116:119], a[16:17], v[80:81], 0  // 00000000C8F8: D3CD0074 0A02A110
	v_mfma_f32_16x16x16_f16 v[116:119], a[18:19], v[82:83], v[116:119]// 00000000C900: D3CD0074 0DD2A512
	v_mfma_f32_16x16x16_f16 v[116:119], a[20:21], v[84:85], v[116:119]// 00000000C908: D3CD0074 0DD2A914
	v_mfma_f32_16x16x16_f16 v[116:119], a[22:23], v[86:87], v[116:119]// 00000000C910: D3CD0074 0DD2AD16
	v_mfma_f32_16x16x16_f16 v[116:119], a[24:25], v[88:89], v[116:119]// 00000000C918: D3CD0074 0DD2B118
	v_mfma_f32_16x16x16_f16 v[116:119], a[26:27], v[90:91], v[116:119]// 00000000C920: D3CD0074 0DD2B51A
	v_mfma_f32_16x16x16_f16 v[116:119], a[28:29], v[92:93], v[116:119]// 00000000C928: D3CD0074 0DD2B91C
	v_mfma_f32_16x16x16_f16 v[116:119], a[30:31], v[94:95], v[116:119]// 00000000C930: D3CD0074 0DD2BD1E
	v_mfma_f32_16x16x16_f16 v[120:123], a[32:33], v[80:81], 0  // 00000000C938: D3CD0078 0A02A120
	v_mfma_f32_16x16x16_f16 v[120:123], a[34:35], v[82:83], v[120:123]// 00000000C940: D3CD0078 0DE2A522
	v_mfma_f32_16x16x16_f16 v[120:123], a[36:37], v[84:85], v[120:123]// 00000000C948: D3CD0078 0DE2A924
	v_mfma_f32_16x16x16_f16 v[120:123], a[38:39], v[86:87], v[120:123]// 00000000C950: D3CD0078 0DE2AD26
	v_mfma_f32_16x16x16_f16 v[120:123], a[40:41], v[88:89], v[120:123]// 00000000C958: D3CD0078 0DE2B128
	v_mfma_f32_16x16x16_f16 v[120:123], a[42:43], v[90:91], v[120:123]// 00000000C960: D3CD0078 0DE2B52A
	v_mfma_f32_16x16x16_f16 v[120:123], a[44:45], v[92:93], v[120:123]// 00000000C968: D3CD0078 0DE2B92C
	v_mfma_f32_16x16x16_f16 v[120:123], a[46:47], v[94:95], v[120:123]// 00000000C970: D3CD0078 0DE2BD2E
	v_mfma_f32_16x16x16_f16 v[124:127], a[48:49], v[80:81], 0  // 00000000C978: D3CD007C 0A02A130
	v_mfma_f32_16x16x16_f16 v[124:127], a[50:51], v[82:83], v[124:127]// 00000000C980: D3CD007C 0DF2A532
	v_mfma_f32_16x16x16_f16 v[124:127], a[52:53], v[84:85], v[124:127]// 00000000C988: D3CD007C 0DF2A934
	v_mfma_f32_16x16x16_f16 v[124:127], a[54:55], v[86:87], v[124:127]// 00000000C990: D3CD007C 0DF2AD36
	v_mfma_f32_16x16x16_f16 v[124:127], a[56:57], v[88:89], v[124:127]// 00000000C998: D3CD007C 0DF2B138
	v_mfma_f32_16x16x16_f16 v[124:127], a[58:59], v[90:91], v[124:127]// 00000000C9A0: D3CD007C 0DF2B53A
	v_mfma_f32_16x16x16_f16 v[124:127], a[60:61], v[92:93], v[124:127]// 00000000C9A8: D3CD007C 0DF2B93C
	v_mfma_f32_16x16x16_f16 v[124:127], a[62:63], v[94:95], v[124:127]// 00000000C9B0: D3CD007C 0DF2BD3E
	v_mfma_f32_16x16x16_f16 v[144:147], a[0:1], v[96:97], 0    // 00000000C9B8: D3CD0090 0A02C100
	v_mfma_f32_16x16x16_f16 v[144:147], a[2:3], v[98:99], v[144:147]// 00000000C9C0: D3CD0090 0E42C502
	v_mfma_f32_16x16x16_f16 v[144:147], a[4:5], v[100:101], v[144:147]// 00000000C9C8: D3CD0090 0E42C904
	v_mfma_f32_16x16x16_f16 v[144:147], a[6:7], v[102:103], v[144:147]// 00000000C9D0: D3CD0090 0E42CD06
	v_mfma_f32_16x16x16_f16 v[144:147], a[8:9], v[104:105], v[144:147]// 00000000C9D8: D3CD0090 0E42D108
	v_mfma_f32_16x16x16_f16 v[144:147], a[10:11], v[106:107], v[144:147]// 00000000C9E0: D3CD0090 0E42D50A
	v_mfma_f32_16x16x16_f16 v[144:147], a[12:13], v[108:109], v[144:147]// 00000000C9E8: D3CD0090 0E42D90C
	v_mfma_f32_16x16x16_f16 v[144:147], a[14:15], v[110:111], v[144:147]// 00000000C9F0: D3CD0090 0E42DD0E
	v_mfma_f32_16x16x16_f16 v[148:151], a[16:17], v[96:97], 0  // 00000000C9F8: D3CD0094 0A02C110
	v_mfma_f32_16x16x16_f16 v[148:151], a[18:19], v[98:99], v[148:151]// 00000000CA00: D3CD0094 0E52C512
	v_mfma_f32_16x16x16_f16 v[148:151], a[20:21], v[100:101], v[148:151]// 00000000CA08: D3CD0094 0E52C914
	v_mfma_f32_16x16x16_f16 v[148:151], a[22:23], v[102:103], v[148:151]// 00000000CA10: D3CD0094 0E52CD16
	v_mfma_f32_16x16x16_f16 v[148:151], a[24:25], v[104:105], v[148:151]// 00000000CA18: D3CD0094 0E52D118
	v_mfma_f32_16x16x16_f16 v[148:151], a[26:27], v[106:107], v[148:151]// 00000000CA20: D3CD0094 0E52D51A
	v_mfma_f32_16x16x16_f16 v[148:151], a[28:29], v[108:109], v[148:151]// 00000000CA28: D3CD0094 0E52D91C
	v_mfma_f32_16x16x16_f16 v[148:151], a[30:31], v[110:111], v[148:151]// 00000000CA30: D3CD0094 0E52DD1E
	v_mfma_f32_16x16x16_f16 v[152:155], a[32:33], v[96:97], 0  // 00000000CA38: D3CD0098 0A02C120
	v_mfma_f32_16x16x16_f16 v[152:155], a[34:35], v[98:99], v[152:155]// 00000000CA40: D3CD0098 0E62C522
	v_mfma_f32_16x16x16_f16 v[152:155], a[36:37], v[100:101], v[152:155]// 00000000CA48: D3CD0098 0E62C924
	v_mfma_f32_16x16x16_f16 v[152:155], a[38:39], v[102:103], v[152:155]// 00000000CA50: D3CD0098 0E62CD26
	v_mfma_f32_16x16x16_f16 v[152:155], a[40:41], v[104:105], v[152:155]// 00000000CA58: D3CD0098 0E62D128
	v_mfma_f32_16x16x16_f16 v[152:155], a[42:43], v[106:107], v[152:155]// 00000000CA60: D3CD0098 0E62D52A
	v_mfma_f32_16x16x16_f16 v[152:155], a[44:45], v[108:109], v[152:155]// 00000000CA68: D3CD0098 0E62D92C
	v_mfma_f32_16x16x16_f16 v[152:155], a[46:47], v[110:111], v[152:155]// 00000000CA70: D3CD0098 0E62DD2E
	v_mfma_f32_16x16x16_f16 v[156:159], a[48:49], v[96:97], 0  // 00000000CA78: D3CD009C 0A02C130
	v_mfma_f32_16x16x16_f16 v[156:159], a[50:51], v[98:99], v[156:159]// 00000000CA80: D3CD009C 0E72C532
	v_mfma_f32_16x16x16_f16 v[156:159], a[52:53], v[100:101], v[156:159]// 00000000CA88: D3CD009C 0E72C934
	v_mfma_f32_16x16x16_f16 v[156:159], a[54:55], v[102:103], v[156:159]// 00000000CA90: D3CD009C 0E72CD36
	v_mfma_f32_16x16x16_f16 v[156:159], a[56:57], v[104:105], v[156:159]// 00000000CA98: D3CD009C 0E72D138
	v_mfma_f32_16x16x16_f16 v[156:159], a[58:59], v[106:107], v[156:159]// 00000000CAA0: D3CD009C 0E72D53A
	v_mfma_f32_16x16x16_f16 v[156:159], a[60:61], v[108:109], v[156:159]// 00000000CAA8: D3CD009C 0E72D93C
	v_mfma_f32_16x16x16_f16 v[156:159], a[62:63], v[110:111], v[156:159]// 00000000CAB0: D3CD009C 0E72DD3E
	s_nop 8                                                    // 00000000CAB8: BF800008
	s_and_b32 s60, s72, 0xff                                   // 00000000CABC: 863CFF48 000000FF
	v_mov_b32_e32 v56, s60                                     // 00000000CAC4: 7E70023C
	v_lshrrev_b32_e32 v31, 4, v0                               // 00000000CAC8: 203E0084
	v_mul_i32_i24_e32 v31, 4, v31                              // 00000000CACC: 0C3E3E84
	s_mul_i32 s60, s7, 16                                      // 00000000CAD0: 923C9007
	v_add_u32_e32 v31, s60, v31                                // 00000000CAD4: 683E3E3C
	v_add_u32_e32 v32, 1, v31                                  // 00000000CAD8: 68403E81
	v_add_u32_e32 v33, 2, v31                                  // 00000000CADC: 68423E82
	v_add_u32_e32 v34, 3, v31                                  // 00000000CAE0: 68443E83
	v_mov_b32_e32 v39, v55                                     // 00000000CAE4: 7E4E0337
	v_cmp_lt_u32_e64 s[40:41], v31, v56                        // 00000000CAE8: D0C90028 0002711F
	v_add_u32_e32 v31, 64, v31                                 // 00000000CAF0: 683E3EC0
	s_nop 0                                                    // 00000000CAF4: BF800000
	v_cndmask_b32_e64 v112, v39, v112, s[40:41]                // 00000000CAF8: D1000070 00A2E127
	v_cmp_lt_u32_e64 s[40:41], v32, v56                        // 00000000CB00: D0C90028 00027120
	v_add_u32_e32 v32, 64, v32                                 // 00000000CB08: 684040C0
	s_nop 0                                                    // 00000000CB0C: BF800000
	v_cndmask_b32_e64 v113, v39, v113, s[40:41]                // 00000000CB10: D1000071 00A2E327
	v_cmp_lt_u32_e64 s[40:41], v33, v56                        // 00000000CB18: D0C90028 00027121
	v_add_u32_e32 v33, 64, v33                                 // 00000000CB20: 684242C0
	s_nop 0                                                    // 00000000CB24: BF800000
	v_cndmask_b32_e64 v114, v39, v114, s[40:41]                // 00000000CB28: D1000072 00A2E527
	v_cmp_lt_u32_e64 s[40:41], v34, v56                        // 00000000CB30: D0C90028 00027122
	v_add_u32_e32 v34, 64, v34                                 // 00000000CB38: 684444C0
	s_nop 0                                                    // 00000000CB3C: BF800000
	v_cndmask_b32_e64 v115, v39, v115, s[40:41]                // 00000000CB40: D1000073 00A2E727
	v_cmp_lt_u32_e64 s[40:41], v31, v56                        // 00000000CB48: D0C90028 0002711F
	v_add_u32_e32 v31, 64, v31                                 // 00000000CB50: 683E3EC0
	s_nop 0                                                    // 00000000CB54: BF800000
	v_cndmask_b32_e64 v116, v39, v116, s[40:41]                // 00000000CB58: D1000074 00A2E927
	v_cmp_lt_u32_e64 s[40:41], v32, v56                        // 00000000CB60: D0C90028 00027120
	v_add_u32_e32 v32, 64, v32                                 // 00000000CB68: 684040C0
	s_nop 0                                                    // 00000000CB6C: BF800000
	v_cndmask_b32_e64 v117, v39, v117, s[40:41]                // 00000000CB70: D1000075 00A2EB27
	v_cmp_lt_u32_e64 s[40:41], v33, v56                        // 00000000CB78: D0C90028 00027121
	v_add_u32_e32 v33, 64, v33                                 // 00000000CB80: 684242C0
	s_nop 0                                                    // 00000000CB84: BF800000
	v_cndmask_b32_e64 v118, v39, v118, s[40:41]                // 00000000CB88: D1000076 00A2ED27
	v_cmp_lt_u32_e64 s[40:41], v34, v56                        // 00000000CB90: D0C90028 00027122
	v_add_u32_e32 v34, 64, v34                                 // 00000000CB98: 684444C0
	s_nop 0                                                    // 00000000CB9C: BF800000
	v_cndmask_b32_e64 v119, v39, v119, s[40:41]                // 00000000CBA0: D1000077 00A2EF27
	v_cmp_lt_u32_e64 s[40:41], v31, v56                        // 00000000CBA8: D0C90028 0002711F
	v_add_u32_e32 v31, 64, v31                                 // 00000000CBB0: 683E3EC0
	s_nop 0                                                    // 00000000CBB4: BF800000
	v_cndmask_b32_e64 v120, v39, v120, s[40:41]                // 00000000CBB8: D1000078 00A2F127
	v_cmp_lt_u32_e64 s[40:41], v32, v56                        // 00000000CBC0: D0C90028 00027120
	v_add_u32_e32 v32, 64, v32                                 // 00000000CBC8: 684040C0
	s_nop 0                                                    // 00000000CBCC: BF800000
	v_cndmask_b32_e64 v121, v39, v121, s[40:41]                // 00000000CBD0: D1000079 00A2F327
	v_cmp_lt_u32_e64 s[40:41], v33, v56                        // 00000000CBD8: D0C90028 00027121
	v_add_u32_e32 v33, 64, v33                                 // 00000000CBE0: 684242C0
	s_nop 0                                                    // 00000000CBE4: BF800000
	v_cndmask_b32_e64 v122, v39, v122, s[40:41]                // 00000000CBE8: D100007A 00A2F527
	v_cmp_lt_u32_e64 s[40:41], v34, v56                        // 00000000CBF0: D0C90028 00027122
	v_add_u32_e32 v34, 64, v34                                 // 00000000CBF8: 684444C0
	s_nop 0                                                    // 00000000CBFC: BF800000
	v_cndmask_b32_e64 v123, v39, v123, s[40:41]                // 00000000CC00: D100007B 00A2F727
	v_cmp_lt_u32_e64 s[40:41], v31, v56                        // 00000000CC08: D0C90028 0002711F
	v_add_u32_e32 v31, 64, v31                                 // 00000000CC10: 683E3EC0
	s_nop 0                                                    // 00000000CC14: BF800000
	v_cndmask_b32_e64 v124, v39, v124, s[40:41]                // 00000000CC18: D100007C 00A2F927
	v_cmp_lt_u32_e64 s[40:41], v32, v56                        // 00000000CC20: D0C90028 00027120
	v_add_u32_e32 v32, 64, v32                                 // 00000000CC28: 684040C0
	s_nop 0                                                    // 00000000CC2C: BF800000
	v_cndmask_b32_e64 v125, v39, v125, s[40:41]                // 00000000CC30: D100007D 00A2FB27
	v_cmp_lt_u32_e64 s[40:41], v33, v56                        // 00000000CC38: D0C90028 00027121
	v_add_u32_e32 v33, 64, v33                                 // 00000000CC40: 684242C0
	s_nop 0                                                    // 00000000CC44: BF800000
	v_cndmask_b32_e64 v126, v39, v126, s[40:41]                // 00000000CC48: D100007E 00A2FD27
	v_cmp_lt_u32_e64 s[40:41], v34, v56                        // 00000000CC50: D0C90028 00027122
	v_add_u32_e32 v34, 64, v34                                 // 00000000CC58: 684444C0
	s_nop 0                                                    // 00000000CC5C: BF800000
	v_cndmask_b32_e64 v127, v39, v127, s[40:41]                // 00000000CC60: D100007F 00A2FF27
	s_and_b32 s60, s72, 0xff                                   // 00000000CC68: 863CFF48 000000FF
	v_mov_b32_e32 v56, s60                                     // 00000000CC70: 7E70023C
	v_lshrrev_b32_e32 v31, 4, v0                               // 00000000CC74: 203E0084
	v_mul_i32_i24_e32 v31, 4, v31                              // 00000000CC78: 0C3E3E84
	s_mul_i32 s60, s7, 16                                      // 00000000CC7C: 923C9007
	v_add_u32_e32 v31, s60, v31                                // 00000000CC80: 683E3E3C
	v_add_u32_e32 v32, 1, v31                                  // 00000000CC84: 68403E81
	v_add_u32_e32 v33, 2, v31                                  // 00000000CC88: 68423E82
	v_add_u32_e32 v34, 3, v31                                  // 00000000CC8C: 68443E83
	v_mov_b32_e32 v39, v55                                     // 00000000CC90: 7E4E0337
	v_cmp_lt_u32_e64 s[40:41], v31, v56                        // 00000000CC94: D0C90028 0002711F
	v_add_u32_e32 v31, 64, v31                                 // 00000000CC9C: 683E3EC0
	s_nop 0                                                    // 00000000CCA0: BF800000
	v_cndmask_b32_e64 v144, v39, v144, s[40:41]                // 00000000CCA4: D1000090 00A32127
	v_cmp_lt_u32_e64 s[40:41], v32, v56                        // 00000000CCAC: D0C90028 00027120
	v_add_u32_e32 v32, 64, v32                                 // 00000000CCB4: 684040C0
	s_nop 0                                                    // 00000000CCB8: BF800000
	v_cndmask_b32_e64 v145, v39, v145, s[40:41]                // 00000000CCBC: D1000091 00A32327
	v_cmp_lt_u32_e64 s[40:41], v33, v56                        // 00000000CCC4: D0C90028 00027121
	v_add_u32_e32 v33, 64, v33                                 // 00000000CCCC: 684242C0
	s_nop 0                                                    // 00000000CCD0: BF800000
	v_cndmask_b32_e64 v146, v39, v146, s[40:41]                // 00000000CCD4: D1000092 00A32527
	v_cmp_lt_u32_e64 s[40:41], v34, v56                        // 00000000CCDC: D0C90028 00027122
	v_add_u32_e32 v34, 64, v34                                 // 00000000CCE4: 684444C0
	s_nop 0                                                    // 00000000CCE8: BF800000
	v_cndmask_b32_e64 v147, v39, v147, s[40:41]                // 00000000CCEC: D1000093 00A32727
	v_cmp_lt_u32_e64 s[40:41], v31, v56                        // 00000000CCF4: D0C90028 0002711F
	v_add_u32_e32 v31, 64, v31                                 // 00000000CCFC: 683E3EC0
	s_nop 0                                                    // 00000000CD00: BF800000
	v_cndmask_b32_e64 v148, v39, v148, s[40:41]                // 00000000CD04: D1000094 00A32927
	v_cmp_lt_u32_e64 s[40:41], v32, v56                        // 00000000CD0C: D0C90028 00027120
	v_add_u32_e32 v32, 64, v32                                 // 00000000CD14: 684040C0
	s_nop 0                                                    // 00000000CD18: BF800000
	v_cndmask_b32_e64 v149, v39, v149, s[40:41]                // 00000000CD1C: D1000095 00A32B27
	v_cmp_lt_u32_e64 s[40:41], v33, v56                        // 00000000CD24: D0C90028 00027121
	v_add_u32_e32 v33, 64, v33                                 // 00000000CD2C: 684242C0
	s_nop 0                                                    // 00000000CD30: BF800000
	v_cndmask_b32_e64 v150, v39, v150, s[40:41]                // 00000000CD34: D1000096 00A32D27
	v_cmp_lt_u32_e64 s[40:41], v34, v56                        // 00000000CD3C: D0C90028 00027122
	v_add_u32_e32 v34, 64, v34                                 // 00000000CD44: 684444C0
	s_nop 0                                                    // 00000000CD48: BF800000
	v_cndmask_b32_e64 v151, v39, v151, s[40:41]                // 00000000CD4C: D1000097 00A32F27
	v_cmp_lt_u32_e64 s[40:41], v31, v56                        // 00000000CD54: D0C90028 0002711F
	v_add_u32_e32 v31, 64, v31                                 // 00000000CD5C: 683E3EC0
	s_nop 0                                                    // 00000000CD60: BF800000
	v_cndmask_b32_e64 v152, v39, v152, s[40:41]                // 00000000CD64: D1000098 00A33127
	v_cmp_lt_u32_e64 s[40:41], v32, v56                        // 00000000CD6C: D0C90028 00027120
	v_add_u32_e32 v32, 64, v32                                 // 00000000CD74: 684040C0
	s_nop 0                                                    // 00000000CD78: BF800000
	v_cndmask_b32_e64 v153, v39, v153, s[40:41]                // 00000000CD7C: D1000099 00A33327
	v_cmp_lt_u32_e64 s[40:41], v33, v56                        // 00000000CD84: D0C90028 00027121
	v_add_u32_e32 v33, 64, v33                                 // 00000000CD8C: 684242C0
	s_nop 0                                                    // 00000000CD90: BF800000
	v_cndmask_b32_e64 v154, v39, v154, s[40:41]                // 00000000CD94: D100009A 00A33527
	v_cmp_lt_u32_e64 s[40:41], v34, v56                        // 00000000CD9C: D0C90028 00027122
	v_add_u32_e32 v34, 64, v34                                 // 00000000CDA4: 684444C0
	s_nop 0                                                    // 00000000CDA8: BF800000
	v_cndmask_b32_e64 v155, v39, v155, s[40:41]                // 00000000CDAC: D100009B 00A33727
	v_cmp_lt_u32_e64 s[40:41], v31, v56                        // 00000000CDB4: D0C90028 0002711F
	v_add_u32_e32 v31, 64, v31                                 // 00000000CDBC: 683E3EC0
	s_nop 0                                                    // 00000000CDC0: BF800000
	v_cndmask_b32_e64 v156, v39, v156, s[40:41]                // 00000000CDC4: D100009C 00A33927
	v_cmp_lt_u32_e64 s[40:41], v32, v56                        // 00000000CDCC: D0C90028 00027120
	v_add_u32_e32 v32, 64, v32                                 // 00000000CDD4: 684040C0
	s_nop 0                                                    // 00000000CDD8: BF800000
	v_cndmask_b32_e64 v157, v39, v157, s[40:41]                // 00000000CDDC: D100009D 00A33B27
	v_cmp_lt_u32_e64 s[40:41], v33, v56                        // 00000000CDE4: D0C90028 00027121
	v_add_u32_e32 v33, 64, v33                                 // 00000000CDEC: 684242C0
	s_nop 0                                                    // 00000000CDF0: BF800000
	v_cndmask_b32_e64 v158, v39, v158, s[40:41]                // 00000000CDF4: D100009E 00A33D27
	v_cmp_lt_u32_e64 s[40:41], v34, v56                        // 00000000CDFC: D0C90028 00027122
	v_add_u32_e32 v34, 64, v34                                 // 00000000CE04: 684444C0
	s_nop 0                                                    // 00000000CE08: BF800000
	v_cndmask_b32_e64 v159, v39, v159, s[40:41]                // 00000000CE0C: D100009F 00A33F27
	s_nop 8                                                    // 00000000CE14: BF800008
	v_mov_b32_e32 v50, v112                                    // 00000000CE18: 7E640370
	v_max3_f32 v50, v112, v113, v50                            // 00000000CE1C: D1D30032 04CAE370
	v_max3_f32 v50, v114, v115, v50                            // 00000000CE24: D1D30032 04CAE772
	v_max3_f32 v50, v116, v117, v50                            // 00000000CE2C: D1D30032 04CAEB74
	v_max3_f32 v50, v118, v119, v50                            // 00000000CE34: D1D30032 04CAEF76
	v_max3_f32 v50, v120, v121, v50                            // 00000000CE3C: D1D30032 04CAF378
	v_max3_f32 v50, v122, v123, v50                            // 00000000CE44: D1D30032 04CAF77A
	v_max3_f32 v50, v124, v125, v50                            // 00000000CE4C: D1D30032 04CAFB7C
	v_max3_f32 v50, v126, v127, v50                            // 00000000CE54: D1D30032 04CAFF7E
	ds_write_b32 v11, v50                                      // 00000000CE5C: D81A0000 0000320B
	s_waitcnt lgkmcnt(0)                                       // 00000000CE64: BF8CC07F
	s_barrier                                                  // 00000000CE68: BF8A0000
	ds_read_b32 v64, v10                                       // 00000000CE6C: D86C0000 4000000A
	ds_read_b32 v65, v10 offset:64                             // 00000000CE74: D86C0040 4100000A
	ds_read_b32 v66, v10 offset:128                            // 00000000CE7C: D86C0080 4200000A
	ds_read_b32 v67, v10 offset:192                            // 00000000CE84: D86C00C0 4300000A
	ds_read_b32 v68, v10 offset:256                            // 00000000CE8C: D86C0100 4400000A
	ds_read_b32 v69, v10 offset:320                            // 00000000CE94: D86C0140 4500000A
	ds_read_b32 v70, v10 offset:384                            // 00000000CE9C: D86C0180 4600000A
	ds_read_b32 v71, v10 offset:448                            // 00000000CEA4: D86C01C0 4700000A
	ds_read_b32 v72, v10 offset:512                            // 00000000CEAC: D86C0200 4800000A
	ds_read_b32 v73, v10 offset:576                            // 00000000CEB4: D86C0240 4900000A
	ds_read_b32 v74, v10 offset:640                            // 00000000CEBC: D86C0280 4A00000A
	ds_read_b32 v75, v10 offset:704                            // 00000000CEC4: D86C02C0 4B00000A
	ds_read_b32 v76, v10 offset:768                            // 00000000CECC: D86C0300 4C00000A
	ds_read_b32 v77, v10 offset:832                            // 00000000CED4: D86C0340 4D00000A
	ds_read_b32 v78, v10 offset:896                            // 00000000CEDC: D86C0380 4E00000A
	ds_read_b32 v79, v10 offset:960                            // 00000000CEE4: D86C03C0 4F00000A
	s_waitcnt lgkmcnt(0)                                       // 00000000CEEC: BF8CC07F
	v_max3_f32 v50, v64, v65, v50                              // 00000000CEF0: D1D30032 04CA8340
	v_max3_f32 v50, v66, v67, v50                              // 00000000CEF8: D1D30032 04CA8742
	v_max3_f32 v50, v68, v69, v50                              // 00000000CF00: D1D30032 04CA8B44
	v_max3_f32 v50, v70, v71, v50                              // 00000000CF08: D1D30032 04CA8F46
	v_max3_f32 v50, v72, v73, v50                              // 00000000CF10: D1D30032 04CA9348
	v_max3_f32 v50, v74, v75, v50                              // 00000000CF18: D1D30032 04CA974A
	v_max3_f32 v50, v76, v77, v50                              // 00000000CF20: D1D30032 04CA9B4C
	v_max3_f32 v50, v78, v79, v50                              // 00000000CF28: D1D30032 04CA9F4E
	v_cmp_eq_u32_e64 s[40:41], v55, v14                        // 00000000CF30: D0CA0028 00021D37
	s_nop 1                                                    // 00000000CF38: BF800001
	v_max_f32_e32 v16, v50, v14                                // 00000000CF3C: 16201D32
	v_sub_f32_e32 v51, v14, v16                                // 00000000CF40: 0466210E
	v_cndmask_b32_e64 v51, v51, 0, s[40:41]                    // 00000000CF44: D1000033 00A10133
	v_mov_b32_e32 v14, v16                                     // 00000000CF4C: 7E1C0310
	v_mul_f32_e32 v53, s64, v16                                // 00000000CF50: 0A6A2040
	v_mul_f32_e32 v51, s64, v51                                // 00000000CF54: 0A666640
	v_exp_f32_e32 v51, v51                                     // 00000000CF58: 7E664133
	v_fma_f32 v112, v112, s64, -v53                            // 00000000CF5C: D1CB0070 84D48170
	v_fma_f32 v113, v113, s64, -v53                            // 00000000CF64: D1CB0071 84D48171
	v_fma_f32 v114, v114, s64, -v53                            // 00000000CF6C: D1CB0072 84D48172
	v_fma_f32 v115, v115, s64, -v53                            // 00000000CF74: D1CB0073 84D48173
	v_fma_f32 v116, v116, s64, -v53                            // 00000000CF7C: D1CB0074 84D48174
	v_fma_f32 v117, v117, s64, -v53                            // 00000000CF84: D1CB0075 84D48175
	v_fma_f32 v118, v118, s64, -v53                            // 00000000CF8C: D1CB0076 84D48176
	v_fma_f32 v119, v119, s64, -v53                            // 00000000CF94: D1CB0077 84D48177
	v_fma_f32 v120, v120, s64, -v53                            // 00000000CF9C: D1CB0078 84D48178
	v_fma_f32 v121, v121, s64, -v53                            // 00000000CFA4: D1CB0079 84D48179
	v_fma_f32 v122, v122, s64, -v53                            // 00000000CFAC: D1CB007A 84D4817A
	v_fma_f32 v123, v123, s64, -v53                            // 00000000CFB4: D1CB007B 84D4817B
	v_fma_f32 v124, v124, s64, -v53                            // 00000000CFBC: D1CB007C 84D4817C
	v_fma_f32 v125, v125, s64, -v53                            // 00000000CFC4: D1CB007D 84D4817D
	v_fma_f32 v126, v126, s64, -v53                            // 00000000CFCC: D1CB007E 84D4817E
	v_fma_f32 v127, v127, s64, -v53                            // 00000000CFD4: D1CB007F 84D4817F
	v_exp_f32_e32 v112, v112                                   // 00000000CFDC: 7EE04170
	v_exp_f32_e32 v113, v113                                   // 00000000CFE0: 7EE24171
	v_exp_f32_e32 v114, v114                                   // 00000000CFE4: 7EE44172
	v_exp_f32_e32 v115, v115                                   // 00000000CFE8: 7EE64173
	v_exp_f32_e32 v116, v116                                   // 00000000CFEC: 7EE84174
	v_exp_f32_e32 v117, v117                                   // 00000000CFF0: 7EEA4175
	v_exp_f32_e32 v118, v118                                   // 00000000CFF4: 7EEC4176
	v_exp_f32_e32 v119, v119                                   // 00000000CFF8: 7EEE4177
	v_exp_f32_e32 v120, v120                                   // 00000000CFFC: 7EF04178
	v_exp_f32_e32 v121, v121                                   // 00000000D000: 7EF24179
	v_exp_f32_e32 v122, v122                                   // 00000000D004: 7EF4417A
	v_exp_f32_e32 v123, v123                                   // 00000000D008: 7EF6417B
	v_exp_f32_e32 v124, v124                                   // 00000000D00C: 7EF8417C
	v_exp_f32_e32 v125, v125                                   // 00000000D010: 7EFA417D
	v_exp_f32_e32 v126, v126                                   // 00000000D014: 7EFC417E
	v_exp_f32_e32 v127, v127                                   // 00000000D018: 7EFE417F
	v_mul_f32_e32 v43, v51, v43                                // 00000000D01C: 0A565733
	v_mov_b32_e32 v45, v112                                    // 00000000D020: 7E5A0370
	v_add_f32_e32 v45, v113, v45                               // 00000000D024: 025A5B71
	v_add_f32_e32 v45, v114, v45                               // 00000000D028: 025A5B72
	v_add_f32_e32 v45, v115, v45                               // 00000000D02C: 025A5B73
	v_add_f32_e32 v45, v116, v45                               // 00000000D030: 025A5B74
	v_add_f32_e32 v45, v117, v45                               // 00000000D034: 025A5B75
	v_add_f32_e32 v45, v118, v45                               // 00000000D038: 025A5B76
	v_add_f32_e32 v45, v119, v45                               // 00000000D03C: 025A5B77
	v_add_f32_e32 v45, v120, v45                               // 00000000D040: 025A5B78
	v_add_f32_e32 v45, v121, v45                               // 00000000D044: 025A5B79
	v_add_f32_e32 v45, v122, v45                               // 00000000D048: 025A5B7A
	v_add_f32_e32 v45, v123, v45                               // 00000000D04C: 025A5B7B
	v_add_f32_e32 v45, v124, v45                               // 00000000D050: 025A5B7C
	v_add_f32_e32 v45, v125, v45                               // 00000000D054: 025A5B7D
	v_add_f32_e32 v45, v126, v45                               // 00000000D058: 025A5B7E
	v_add_f32_e32 v45, v127, v45                               // 00000000D05C: 025A5B7F
	v_add_f32_e32 v43, v45, v43                                // 00000000D060: 0256572D
	v_cvt_pkrtz_f16_f32 v39, v112, v113                        // 00000000D064: D2960027 0002E370
	v_mov_b32_e32 v112, v39                                    // 00000000D06C: 7EE00327
	v_cvt_pkrtz_f16_f32 v39, v114, v115                        // 00000000D070: D2960027 0002E772
	v_mov_b32_e32 v113, v39                                    // 00000000D078: 7EE20327
	v_cvt_pkrtz_f16_f32 v39, v116, v117                        // 00000000D07C: D2960027 0002EB74
	v_mov_b32_e32 v114, v39                                    // 00000000D084: 7EE40327
	v_cvt_pkrtz_f16_f32 v39, v118, v119                        // 00000000D088: D2960027 0002EF76
	v_mov_b32_e32 v115, v39                                    // 00000000D090: 7EE60327
	v_cvt_pkrtz_f16_f32 v39, v120, v121                        // 00000000D094: D2960027 0002F378
	v_mov_b32_e32 v116, v39                                    // 00000000D09C: 7EE80327
	v_cvt_pkrtz_f16_f32 v39, v122, v123                        // 00000000D0A0: D2960027 0002F77A
	v_mov_b32_e32 v117, v39                                    // 00000000D0A8: 7EEA0327
	v_cvt_pkrtz_f16_f32 v39, v124, v125                        // 00000000D0AC: D2960027 0002FB7C
	v_mov_b32_e32 v118, v39                                    // 00000000D0B4: 7EEC0327
	v_cvt_pkrtz_f16_f32 v39, v126, v127                        // 00000000D0B8: D2960027 0002FF7E
	v_mov_b32_e32 v119, v39                                    // 00000000D0C0: 7EEE0327
	ds_write_b64 v13, v[112:113] offset:4096                   // 00000000D0C4: D89A1000 0000700D
	ds_write_b64 v13, v[114:115] offset:6144                   // 00000000D0CC: D89A1800 0000720D
	ds_write_b64 v13, v[116:117] offset:8192                   // 00000000D0D4: D89A2000 0000740D
	ds_write_b64 v13, v[118:119] offset:10240                  // 00000000D0DC: D89A2800 0000760D
	s_waitcnt lgkmcnt(0)                                       // 00000000D0E4: BF8CC07F
	s_barrier                                                  // 00000000D0E8: BF8A0000
	ds_read_b64 v[112:113], v12 offset:4096                    // 00000000D0EC: D8EC1000 7000000C
	ds_read_b64 v[114:115], v12 offset:4224                    // 00000000D0F4: D8EC1080 7200000C
	ds_read_b64 v[116:117], v12 offset:5120                    // 00000000D0FC: D8EC1400 7400000C
	ds_read_b64 v[118:119], v12 offset:5248                    // 00000000D104: D8EC1480 7600000C
	ds_read_b64 v[120:121], v12 offset:6144                    // 00000000D10C: D8EC1800 7800000C
	ds_read_b64 v[122:123], v12 offset:6272                    // 00000000D114: D8EC1880 7A00000C
	ds_read_b64 v[124:125], v12 offset:7168                    // 00000000D11C: D8EC1C00 7C00000C
	ds_read_b64 v[126:127], v12 offset:7296                    // 00000000D124: D8EC1C80 7E00000C
	ds_read_b64 v[128:129], v12 offset:8192                    // 00000000D12C: D8EC2000 8000000C
	ds_read_b64 v[130:131], v12 offset:8320                    // 00000000D134: D8EC2080 8200000C
	ds_read_b64 v[132:133], v12 offset:9216                    // 00000000D13C: D8EC2400 8400000C
	ds_read_b64 v[134:135], v12 offset:9344                    // 00000000D144: D8EC2480 8600000C
	ds_read_b64 v[136:137], v12 offset:10240                   // 00000000D14C: D8EC2800 8800000C
	ds_read_b64 v[138:139], v12 offset:10368                   // 00000000D154: D8EC2880 8A00000C
	ds_read_b64 v[140:141], v12 offset:11264                   // 00000000D15C: D8EC2C00 8C00000C
	ds_read_b64 v[142:143], v12 offset:11392                   // 00000000D164: D8EC2C80 8E00000C
	s_waitcnt lgkmcnt(0)                                       // 00000000D16C: BF8CC07F
	s_nop 8                                                    // 00000000D170: BF800008
	v_mov_b32_e32 v50, v144                                    // 00000000D174: 7E640390
	v_max3_f32 v50, v144, v145, v50                            // 00000000D178: D1D30032 04CB2390
	v_max3_f32 v50, v146, v147, v50                            // 00000000D180: D1D30032 04CB2792
	v_max3_f32 v50, v148, v149, v50                            // 00000000D188: D1D30032 04CB2B94
	v_max3_f32 v50, v150, v151, v50                            // 00000000D190: D1D30032 04CB2F96
	v_max3_f32 v50, v152, v153, v50                            // 00000000D198: D1D30032 04CB3398
	v_max3_f32 v50, v154, v155, v50                            // 00000000D1A0: D1D30032 04CB379A
	v_max3_f32 v50, v156, v157, v50                            // 00000000D1A8: D1D30032 04CB3B9C
	v_max3_f32 v50, v158, v159, v50                            // 00000000D1B0: D1D30032 04CB3F9E
	ds_write_b32 v11, v50                                      // 00000000D1B8: D81A0000 0000320B
	s_waitcnt lgkmcnt(0)                                       // 00000000D1C0: BF8CC07F
	s_barrier                                                  // 00000000D1C4: BF8A0000
	ds_read_b32 v64, v10                                       // 00000000D1C8: D86C0000 4000000A
	ds_read_b32 v65, v10 offset:64                             // 00000000D1D0: D86C0040 4100000A
	ds_read_b32 v66, v10 offset:128                            // 00000000D1D8: D86C0080 4200000A
	ds_read_b32 v67, v10 offset:192                            // 00000000D1E0: D86C00C0 4300000A
	ds_read_b32 v68, v10 offset:256                            // 00000000D1E8: D86C0100 4400000A
	ds_read_b32 v69, v10 offset:320                            // 00000000D1F0: D86C0140 4500000A
	ds_read_b32 v70, v10 offset:384                            // 00000000D1F8: D86C0180 4600000A
	ds_read_b32 v71, v10 offset:448                            // 00000000D200: D86C01C0 4700000A
	ds_read_b32 v72, v10 offset:512                            // 00000000D208: D86C0200 4800000A
	ds_read_b32 v73, v10 offset:576                            // 00000000D210: D86C0240 4900000A
	ds_read_b32 v74, v10 offset:640                            // 00000000D218: D86C0280 4A00000A
	ds_read_b32 v75, v10 offset:704                            // 00000000D220: D86C02C0 4B00000A
	ds_read_b32 v76, v10 offset:768                            // 00000000D228: D86C0300 4C00000A
	ds_read_b32 v77, v10 offset:832                            // 00000000D230: D86C0340 4D00000A
	ds_read_b32 v78, v10 offset:896                            // 00000000D238: D86C0380 4E00000A
	ds_read_b32 v79, v10 offset:960                            // 00000000D240: D86C03C0 4F00000A
	s_waitcnt lgkmcnt(0)                                       // 00000000D248: BF8CC07F
	v_max3_f32 v50, v64, v65, v50                              // 00000000D24C: D1D30032 04CA8340
	v_max3_f32 v50, v66, v67, v50                              // 00000000D254: D1D30032 04CA8742
	v_max3_f32 v50, v68, v69, v50                              // 00000000D25C: D1D30032 04CA8B44
	v_max3_f32 v50, v70, v71, v50                              // 00000000D264: D1D30032 04CA8F46
	v_max3_f32 v50, v72, v73, v50                              // 00000000D26C: D1D30032 04CA9348
	v_max3_f32 v50, v74, v75, v50                              // 00000000D274: D1D30032 04CA974A
	v_max3_f32 v50, v76, v77, v50                              // 00000000D27C: D1D30032 04CA9B4C
	v_max3_f32 v50, v78, v79, v50                              // 00000000D284: D1D30032 04CA9F4E
	v_cmp_eq_u32_e64 s[40:41], v55, v15                        // 00000000D28C: D0CA0028 00021F37
	s_nop 1                                                    // 00000000D294: BF800001
	v_max_f32_e32 v16, v50, v15                                // 00000000D298: 16201F32
	v_sub_f32_e32 v52, v15, v16                                // 00000000D29C: 0468210F
	v_cndmask_b32_e64 v52, v52, 0, s[40:41]                    // 00000000D2A0: D1000034 00A10134
	v_mov_b32_e32 v15, v16                                     // 00000000D2A8: 7E1E0310
	v_mul_f32_e32 v53, s64, v16                                // 00000000D2AC: 0A6A2040
	v_mul_f32_e32 v52, s64, v52                                // 00000000D2B0: 0A686840
	v_exp_f32_e32 v52, v52                                     // 00000000D2B4: 7E684134
	v_fma_f32 v144, v144, s64, -v53                            // 00000000D2B8: D1CB0090 84D48190
	v_fma_f32 v145, v145, s64, -v53                            // 00000000D2C0: D1CB0091 84D48191
	v_fma_f32 v146, v146, s64, -v53                            // 00000000D2C8: D1CB0092 84D48192
	v_fma_f32 v147, v147, s64, -v53                            // 00000000D2D0: D1CB0093 84D48193
	v_fma_f32 v148, v148, s64, -v53                            // 00000000D2D8: D1CB0094 84D48194
	v_fma_f32 v149, v149, s64, -v53                            // 00000000D2E0: D1CB0095 84D48195
	v_fma_f32 v150, v150, s64, -v53                            // 00000000D2E8: D1CB0096 84D48196
	v_fma_f32 v151, v151, s64, -v53                            // 00000000D2F0: D1CB0097 84D48197
	v_fma_f32 v152, v152, s64, -v53                            // 00000000D2F8: D1CB0098 84D48198
	v_fma_f32 v153, v153, s64, -v53                            // 00000000D300: D1CB0099 84D48199
	v_fma_f32 v154, v154, s64, -v53                            // 00000000D308: D1CB009A 84D4819A
	v_fma_f32 v155, v155, s64, -v53                            // 00000000D310: D1CB009B 84D4819B
	v_fma_f32 v156, v156, s64, -v53                            // 00000000D318: D1CB009C 84D4819C
	v_fma_f32 v157, v157, s64, -v53                            // 00000000D320: D1CB009D 84D4819D
	v_fma_f32 v158, v158, s64, -v53                            // 00000000D328: D1CB009E 84D4819E
	v_fma_f32 v159, v159, s64, -v53                            // 00000000D330: D1CB009F 84D4819F
	v_exp_f32_e32 v144, v144                                   // 00000000D338: 7F204190
	v_exp_f32_e32 v145, v145                                   // 00000000D33C: 7F224191
	v_exp_f32_e32 v146, v146                                   // 00000000D340: 7F244192
	v_exp_f32_e32 v147, v147                                   // 00000000D344: 7F264193
	v_exp_f32_e32 v148, v148                                   // 00000000D348: 7F284194
	v_exp_f32_e32 v149, v149                                   // 00000000D34C: 7F2A4195
	v_exp_f32_e32 v150, v150                                   // 00000000D350: 7F2C4196
	v_exp_f32_e32 v151, v151                                   // 00000000D354: 7F2E4197
	v_exp_f32_e32 v152, v152                                   // 00000000D358: 7F304198
	v_exp_f32_e32 v153, v153                                   // 00000000D35C: 7F324199
	v_exp_f32_e32 v154, v154                                   // 00000000D360: 7F34419A
	v_exp_f32_e32 v155, v155                                   // 00000000D364: 7F36419B
	v_exp_f32_e32 v156, v156                                   // 00000000D368: 7F38419C
	v_exp_f32_e32 v157, v157                                   // 00000000D36C: 7F3A419D
	v_exp_f32_e32 v158, v158                                   // 00000000D370: 7F3C419E
	v_exp_f32_e32 v159, v159                                   // 00000000D374: 7F3E419F
	v_mul_f32_e32 v44, v52, v44                                // 00000000D378: 0A585934
	v_mov_b32_e32 v45, v144                                    // 00000000D37C: 7E5A0390
	v_add_f32_e32 v45, v145, v45                               // 00000000D380: 025A5B91
	v_add_f32_e32 v45, v146, v45                               // 00000000D384: 025A5B92
	v_add_f32_e32 v45, v147, v45                               // 00000000D388: 025A5B93
	v_add_f32_e32 v45, v148, v45                               // 00000000D38C: 025A5B94
	v_add_f32_e32 v45, v149, v45                               // 00000000D390: 025A5B95
	v_add_f32_e32 v45, v150, v45                               // 00000000D394: 025A5B96
	v_add_f32_e32 v45, v151, v45                               // 00000000D398: 025A5B97
	v_add_f32_e32 v45, v152, v45                               // 00000000D39C: 025A5B98
	v_add_f32_e32 v45, v153, v45                               // 00000000D3A0: 025A5B99
	v_add_f32_e32 v45, v154, v45                               // 00000000D3A4: 025A5B9A
	v_add_f32_e32 v45, v155, v45                               // 00000000D3A8: 025A5B9B
	v_add_f32_e32 v45, v156, v45                               // 00000000D3AC: 025A5B9C
	v_add_f32_e32 v45, v157, v45                               // 00000000D3B0: 025A5B9D
	v_add_f32_e32 v45, v158, v45                               // 00000000D3B4: 025A5B9E
	v_add_f32_e32 v45, v159, v45                               // 00000000D3B8: 025A5B9F
	v_add_f32_e32 v44, v45, v44                                // 00000000D3BC: 0258592D
	v_cvt_pkrtz_f16_f32 v39, v144, v145                        // 00000000D3C0: D2960027 00032390
	v_mov_b32_e32 v144, v39                                    // 00000000D3C8: 7F200327
	v_cvt_pkrtz_f16_f32 v39, v146, v147                        // 00000000D3CC: D2960027 00032792
	v_mov_b32_e32 v145, v39                                    // 00000000D3D4: 7F220327
	v_cvt_pkrtz_f16_f32 v39, v148, v149                        // 00000000D3D8: D2960027 00032B94
	v_mov_b32_e32 v146, v39                                    // 00000000D3E0: 7F240327
	v_cvt_pkrtz_f16_f32 v39, v150, v151                        // 00000000D3E4: D2960027 00032F96
	v_mov_b32_e32 v147, v39                                    // 00000000D3EC: 7F260327
	v_cvt_pkrtz_f16_f32 v39, v152, v153                        // 00000000D3F0: D2960027 00033398
	v_mov_b32_e32 v148, v39                                    // 00000000D3F8: 7F280327
	v_cvt_pkrtz_f16_f32 v39, v154, v155                        // 00000000D3FC: D2960027 0003379A
	v_mov_b32_e32 v149, v39                                    // 00000000D404: 7F2A0327
	v_cvt_pkrtz_f16_f32 v39, v156, v157                        // 00000000D408: D2960027 00033B9C
	v_mov_b32_e32 v150, v39                                    // 00000000D410: 7F2C0327
	v_cvt_pkrtz_f16_f32 v39, v158, v159                        // 00000000D414: D2960027 00033F9E
	v_mov_b32_e32 v151, v39                                    // 00000000D41C: 7F2E0327
	ds_write_b64 v13, v[144:145] offset:4096                   // 00000000D420: D89A1000 0000900D
	ds_write_b64 v13, v[146:147] offset:6144                   // 00000000D428: D89A1800 0000920D
	ds_write_b64 v13, v[148:149] offset:8192                   // 00000000D430: D89A2000 0000940D
	ds_write_b64 v13, v[150:151] offset:10240                  // 00000000D438: D89A2800 0000960D
	s_waitcnt lgkmcnt(0)                                       // 00000000D440: BF8CC07F
	s_barrier                                                  // 00000000D444: BF8A0000
	ds_read_b64 v[144:145], v12 offset:4096                    // 00000000D448: D8EC1000 9000000C
	ds_read_b64 v[146:147], v12 offset:4224                    // 00000000D450: D8EC1080 9200000C
	ds_read_b64 v[148:149], v12 offset:5120                    // 00000000D458: D8EC1400 9400000C
	ds_read_b64 v[150:151], v12 offset:5248                    // 00000000D460: D8EC1480 9600000C
	ds_read_b64 v[152:153], v12 offset:6144                    // 00000000D468: D8EC1800 9800000C
	ds_read_b64 v[154:155], v12 offset:6272                    // 00000000D470: D8EC1880 9A00000C
	ds_read_b64 v[156:157], v12 offset:7168                    // 00000000D478: D8EC1C00 9C00000C
	ds_read_b64 v[158:159], v12 offset:7296                    // 00000000D480: D8EC1C80 9E00000C
	ds_read_b64 v[160:161], v12 offset:8192                    // 00000000D488: D8EC2000 A000000C
	ds_read_b64 v[162:163], v12 offset:8320                    // 00000000D490: D8EC2080 A200000C
	ds_read_b64 v[164:165], v12 offset:9216                    // 00000000D498: D8EC2400 A400000C
	ds_read_b64 v[166:167], v12 offset:9344                    // 00000000D4A0: D8EC2480 A600000C
	ds_read_b64 v[168:169], v12 offset:10240                   // 00000000D4A8: D8EC2800 A800000C
	ds_read_b64 v[170:171], v12 offset:10368                   // 00000000D4B0: D8EC2880 AA00000C
	ds_read_b64 v[172:173], v12 offset:11264                   // 00000000D4B8: D8EC2C00 AC00000C
	ds_read_b64 v[174:175], v12 offset:11392                   // 00000000D4C0: D8EC2C80 AE00000C
	s_waitcnt lgkmcnt(0)                                       // 00000000D4C8: BF8CC07F
	v_mul_f32_e32 v176, v51, v176                              // 00000000D4CC: 0B616133
	v_mul_f32_e32 v177, v51, v177                              // 00000000D4D0: 0B636333
	v_mul_f32_e32 v178, v51, v178                              // 00000000D4D4: 0B656533
	v_mul_f32_e32 v179, v51, v179                              // 00000000D4D8: 0B676733
	v_mul_f32_e32 v180, v51, v180                              // 00000000D4DC: 0B696933
	v_mul_f32_e32 v181, v51, v181                              // 00000000D4E0: 0B6B6B33
	v_mul_f32_e32 v182, v51, v182                              // 00000000D4E4: 0B6D6D33
	v_mul_f32_e32 v183, v51, v183                              // 00000000D4E8: 0B6F6F33
	v_mul_f32_e32 v184, v52, v184                              // 00000000D4EC: 0B717134
	v_mul_f32_e32 v185, v52, v185                              // 00000000D4F0: 0B737334
	v_mul_f32_e32 v186, v52, v186                              // 00000000D4F4: 0B757534
	v_mul_f32_e32 v187, v52, v187                              // 00000000D4F8: 0B777734
	v_mul_f32_e32 v188, v52, v188                              // 00000000D4FC: 0B797934
	v_mul_f32_e32 v189, v52, v189                              // 00000000D500: 0B7B7B34
	v_mul_f32_e32 v190, v52, v190                              // 00000000D504: 0B7D7D34
	v_mul_f32_e32 v191, v52, v191                              // 00000000D508: 0B7F7F34
	s_waitcnt vmcnt(0)                                         // 00000000D50C: BF8C0F70
	s_barrier                                                  // 00000000D510: BF8A0000
	v_mfma_f32_16x16x16_f16 v[176:179], a[128:129], v[112:113], v[176:179]// 00000000D514: D3CD00B0 0EC2E180
	v_mfma_f32_16x16x16_f16 v[176:179], a[130:131], v[114:115], v[176:179]// 00000000D51C: D3CD00B0 0EC2E582
	v_mfma_f32_16x16x16_f16 v[176:179], a[132:133], v[116:117], v[176:179]// 00000000D524: D3CD00B0 0EC2E984
	v_mfma_f32_16x16x16_f16 v[176:179], a[134:135], v[118:119], v[176:179]// 00000000D52C: D3CD00B0 0EC2ED86
	v_mfma_f32_16x16x16_f16 v[176:179], a[136:137], v[120:121], v[176:179]// 00000000D534: D3CD00B0 0EC2F188
	v_mfma_f32_16x16x16_f16 v[176:179], a[138:139], v[122:123], v[176:179]// 00000000D53C: D3CD00B0 0EC2F58A
	v_mfma_f32_16x16x16_f16 v[176:179], a[140:141], v[124:125], v[176:179]// 00000000D544: D3CD00B0 0EC2F98C
	v_mfma_f32_16x16x16_f16 v[176:179], a[142:143], v[126:127], v[176:179]// 00000000D54C: D3CD00B0 0EC2FD8E
	v_mfma_f32_16x16x16_f16 v[176:179], a[144:145], v[128:129], v[176:179]// 00000000D554: D3CD00B0 0EC30190
	v_mfma_f32_16x16x16_f16 v[176:179], a[146:147], v[130:131], v[176:179]// 00000000D55C: D3CD00B0 0EC30592
	v_mfma_f32_16x16x16_f16 v[176:179], a[148:149], v[132:133], v[176:179]// 00000000D564: D3CD00B0 0EC30994
	v_mfma_f32_16x16x16_f16 v[176:179], a[150:151], v[134:135], v[176:179]// 00000000D56C: D3CD00B0 0EC30D96
	v_mfma_f32_16x16x16_f16 v[176:179], a[152:153], v[136:137], v[176:179]// 00000000D574: D3CD00B0 0EC31198
	v_mfma_f32_16x16x16_f16 v[176:179], a[154:155], v[138:139], v[176:179]// 00000000D57C: D3CD00B0 0EC3159A
	v_mfma_f32_16x16x16_f16 v[176:179], a[156:157], v[140:141], v[176:179]// 00000000D584: D3CD00B0 0EC3199C
	v_mfma_f32_16x16x16_f16 v[176:179], a[158:159], v[142:143], v[176:179]// 00000000D58C: D3CD00B0 0EC31D9E
	v_mfma_f32_16x16x16_f16 v[180:183], a[160:161], v[112:113], v[180:183]// 00000000D594: D3CD00B4 0ED2E1A0
	v_mfma_f32_16x16x16_f16 v[180:183], a[162:163], v[114:115], v[180:183]// 00000000D59C: D3CD00B4 0ED2E5A2
	v_mfma_f32_16x16x16_f16 v[180:183], a[164:165], v[116:117], v[180:183]// 00000000D5A4: D3CD00B4 0ED2E9A4
	v_mfma_f32_16x16x16_f16 v[180:183], a[166:167], v[118:119], v[180:183]// 00000000D5AC: D3CD00B4 0ED2EDA6
	v_mfma_f32_16x16x16_f16 v[180:183], a[168:169], v[120:121], v[180:183]// 00000000D5B4: D3CD00B4 0ED2F1A8
	v_mfma_f32_16x16x16_f16 v[180:183], a[170:171], v[122:123], v[180:183]// 00000000D5BC: D3CD00B4 0ED2F5AA
	v_mfma_f32_16x16x16_f16 v[180:183], a[172:173], v[124:125], v[180:183]// 00000000D5C4: D3CD00B4 0ED2F9AC
	v_mfma_f32_16x16x16_f16 v[180:183], a[174:175], v[126:127], v[180:183]// 00000000D5CC: D3CD00B4 0ED2FDAE
	v_mfma_f32_16x16x16_f16 v[180:183], a[176:177], v[128:129], v[180:183]// 00000000D5D4: D3CD00B4 0ED301B0
	v_mfma_f32_16x16x16_f16 v[180:183], a[178:179], v[130:131], v[180:183]// 00000000D5DC: D3CD00B4 0ED305B2
	v_mfma_f32_16x16x16_f16 v[180:183], a[180:181], v[132:133], v[180:183]// 00000000D5E4: D3CD00B4 0ED309B4
	v_mfma_f32_16x16x16_f16 v[180:183], a[182:183], v[134:135], v[180:183]// 00000000D5EC: D3CD00B4 0ED30DB6
	v_mfma_f32_16x16x16_f16 v[180:183], a[184:185], v[136:137], v[180:183]// 00000000D5F4: D3CD00B4 0ED311B8
	v_mfma_f32_16x16x16_f16 v[180:183], a[186:187], v[138:139], v[180:183]// 00000000D5FC: D3CD00B4 0ED315BA
	v_mfma_f32_16x16x16_f16 v[180:183], a[188:189], v[140:141], v[180:183]// 00000000D604: D3CD00B4 0ED319BC
	v_mfma_f32_16x16x16_f16 v[180:183], a[190:191], v[142:143], v[180:183]// 00000000D60C: D3CD00B4 0ED31DBE
	v_mfma_f32_16x16x16_f16 v[184:187], a[128:129], v[144:145], v[184:187]// 00000000D614: D3CD00B8 0EE32180
	v_mfma_f32_16x16x16_f16 v[184:187], a[130:131], v[146:147], v[184:187]// 00000000D61C: D3CD00B8 0EE32582
	v_mfma_f32_16x16x16_f16 v[184:187], a[132:133], v[148:149], v[184:187]// 00000000D624: D3CD00B8 0EE32984
	v_mfma_f32_16x16x16_f16 v[184:187], a[134:135], v[150:151], v[184:187]// 00000000D62C: D3CD00B8 0EE32D86
	v_mfma_f32_16x16x16_f16 v[184:187], a[136:137], v[152:153], v[184:187]// 00000000D634: D3CD00B8 0EE33188
	v_mfma_f32_16x16x16_f16 v[184:187], a[138:139], v[154:155], v[184:187]// 00000000D63C: D3CD00B8 0EE3358A
	v_mfma_f32_16x16x16_f16 v[184:187], a[140:141], v[156:157], v[184:187]// 00000000D644: D3CD00B8 0EE3398C
	v_mfma_f32_16x16x16_f16 v[184:187], a[142:143], v[158:159], v[184:187]// 00000000D64C: D3CD00B8 0EE33D8E
	v_mfma_f32_16x16x16_f16 v[184:187], a[144:145], v[160:161], v[184:187]// 00000000D654: D3CD00B8 0EE34190
	v_mfma_f32_16x16x16_f16 v[184:187], a[146:147], v[162:163], v[184:187]// 00000000D65C: D3CD00B8 0EE34592
	v_mfma_f32_16x16x16_f16 v[184:187], a[148:149], v[164:165], v[184:187]// 00000000D664: D3CD00B8 0EE34994
	v_mfma_f32_16x16x16_f16 v[184:187], a[150:151], v[166:167], v[184:187]// 00000000D66C: D3CD00B8 0EE34D96
	v_mfma_f32_16x16x16_f16 v[184:187], a[152:153], v[168:169], v[184:187]// 00000000D674: D3CD00B8 0EE35198
	v_mfma_f32_16x16x16_f16 v[184:187], a[154:155], v[170:171], v[184:187]// 00000000D67C: D3CD00B8 0EE3559A
	v_mfma_f32_16x16x16_f16 v[184:187], a[156:157], v[172:173], v[184:187]// 00000000D684: D3CD00B8 0EE3599C
	v_mfma_f32_16x16x16_f16 v[184:187], a[158:159], v[174:175], v[184:187]// 00000000D68C: D3CD00B8 0EE35D9E
	v_mfma_f32_16x16x16_f16 v[188:191], a[160:161], v[144:145], v[188:191]// 00000000D694: D3CD00BC 0EF321A0
	v_mfma_f32_16x16x16_f16 v[188:191], a[162:163], v[146:147], v[188:191]// 00000000D69C: D3CD00BC 0EF325A2
	v_mfma_f32_16x16x16_f16 v[188:191], a[164:165], v[148:149], v[188:191]// 00000000D6A4: D3CD00BC 0EF329A4
	v_mfma_f32_16x16x16_f16 v[188:191], a[166:167], v[150:151], v[188:191]// 00000000D6AC: D3CD00BC 0EF32DA6
	v_mfma_f32_16x16x16_f16 v[188:191], a[168:169], v[152:153], v[188:191]// 00000000D6B4: D3CD00BC 0EF331A8
	v_mfma_f32_16x16x16_f16 v[188:191], a[170:171], v[154:155], v[188:191]// 00000000D6BC: D3CD00BC 0EF335AA
	v_mfma_f32_16x16x16_f16 v[188:191], a[172:173], v[156:157], v[188:191]// 00000000D6C4: D3CD00BC 0EF339AC
	v_mfma_f32_16x16x16_f16 v[188:191], a[174:175], v[158:159], v[188:191]// 00000000D6CC: D3CD00BC 0EF33DAE
	v_mfma_f32_16x16x16_f16 v[188:191], a[176:177], v[160:161], v[188:191]// 00000000D6D4: D3CD00BC 0EF341B0
	v_mfma_f32_16x16x16_f16 v[188:191], a[178:179], v[162:163], v[188:191]// 00000000D6DC: D3CD00BC 0EF345B2
	v_mfma_f32_16x16x16_f16 v[188:191], a[180:181], v[164:165], v[188:191]// 00000000D6E4: D3CD00BC 0EF349B4
	v_mfma_f32_16x16x16_f16 v[188:191], a[182:183], v[166:167], v[188:191]// 00000000D6EC: D3CD00BC 0EF34DB6
	v_mfma_f32_16x16x16_f16 v[188:191], a[184:185], v[168:169], v[188:191]// 00000000D6F4: D3CD00BC 0EF351B8
	v_mfma_f32_16x16x16_f16 v[188:191], a[186:187], v[170:171], v[188:191]// 00000000D6FC: D3CD00BC 0EF355BA
	v_mfma_f32_16x16x16_f16 v[188:191], a[188:189], v[172:173], v[188:191]// 00000000D704: D3CD00BC 0EF359BC
	v_mfma_f32_16x16x16_f16 v[188:191], a[190:191], v[174:175], v[188:191]// 00000000D70C: D3CD00BC 0EF35DBE
	s_nop 8                                                    // 00000000D714: BF800008
	s_branch label_30E3                                        // 00000000D718: BF82039B

000000000000d71c <label_2D48>:
	s_waitcnt vmcnt(16) lgkmcnt(0)                             // 00000000D71C: BF8C4070
	s_barrier                                                  // 00000000D720: BF8A0000
	v_mfma_f32_16x16x16_f16 v[112:115], a[64:65], v[80:81], 0  // 00000000D724: D3CD0070 0A02A140
	v_mfma_f32_16x16x16_f16 v[112:115], a[66:67], v[82:83], v[112:115]// 00000000D72C: D3CD0070 0DC2A542
	v_mfma_f32_16x16x16_f16 v[112:115], a[68:69], v[84:85], v[112:115]// 00000000D734: D3CD0070 0DC2A944
	v_mfma_f32_16x16x16_f16 v[112:115], a[70:71], v[86:87], v[112:115]// 00000000D73C: D3CD0070 0DC2AD46
	v_mfma_f32_16x16x16_f16 v[112:115], a[72:73], v[88:89], v[112:115]// 00000000D744: D3CD0070 0DC2B148
	v_mfma_f32_16x16x16_f16 v[112:115], a[74:75], v[90:91], v[112:115]// 00000000D74C: D3CD0070 0DC2B54A
	v_mfma_f32_16x16x16_f16 v[112:115], a[76:77], v[92:93], v[112:115]// 00000000D754: D3CD0070 0DC2B94C
	v_mfma_f32_16x16x16_f16 v[112:115], a[78:79], v[94:95], v[112:115]// 00000000D75C: D3CD0070 0DC2BD4E
	v_mfma_f32_16x16x16_f16 v[116:119], a[80:81], v[80:81], 0  // 00000000D764: D3CD0074 0A02A150
	v_mfma_f32_16x16x16_f16 v[116:119], a[82:83], v[82:83], v[116:119]// 00000000D76C: D3CD0074 0DD2A552
	v_mfma_f32_16x16x16_f16 v[116:119], a[84:85], v[84:85], v[116:119]// 00000000D774: D3CD0074 0DD2A954
	v_mfma_f32_16x16x16_f16 v[116:119], a[86:87], v[86:87], v[116:119]// 00000000D77C: D3CD0074 0DD2AD56
	v_mfma_f32_16x16x16_f16 v[116:119], a[88:89], v[88:89], v[116:119]// 00000000D784: D3CD0074 0DD2B158
	v_mfma_f32_16x16x16_f16 v[116:119], a[90:91], v[90:91], v[116:119]// 00000000D78C: D3CD0074 0DD2B55A
	v_mfma_f32_16x16x16_f16 v[116:119], a[92:93], v[92:93], v[116:119]// 00000000D794: D3CD0074 0DD2B95C
	v_mfma_f32_16x16x16_f16 v[116:119], a[94:95], v[94:95], v[116:119]// 00000000D79C: D3CD0074 0DD2BD5E
	v_mfma_f32_16x16x16_f16 v[120:123], a[96:97], v[80:81], 0  // 00000000D7A4: D3CD0078 0A02A160
	v_mfma_f32_16x16x16_f16 v[120:123], a[98:99], v[82:83], v[120:123]// 00000000D7AC: D3CD0078 0DE2A562
	v_mfma_f32_16x16x16_f16 v[120:123], a[100:101], v[84:85], v[120:123]// 00000000D7B4: D3CD0078 0DE2A964
	v_mfma_f32_16x16x16_f16 v[120:123], a[102:103], v[86:87], v[120:123]// 00000000D7BC: D3CD0078 0DE2AD66
	v_mfma_f32_16x16x16_f16 v[120:123], a[104:105], v[88:89], v[120:123]// 00000000D7C4: D3CD0078 0DE2B168
	v_mfma_f32_16x16x16_f16 v[120:123], a[106:107], v[90:91], v[120:123]// 00000000D7CC: D3CD0078 0DE2B56A
	v_mfma_f32_16x16x16_f16 v[120:123], a[108:109], v[92:93], v[120:123]// 00000000D7D4: D3CD0078 0DE2B96C
	v_mfma_f32_16x16x16_f16 v[120:123], a[110:111], v[94:95], v[120:123]// 00000000D7DC: D3CD0078 0DE2BD6E
	v_mfma_f32_16x16x16_f16 v[124:127], a[112:113], v[80:81], 0// 00000000D7E4: D3CD007C 0A02A170
	v_mfma_f32_16x16x16_f16 v[124:127], a[114:115], v[82:83], v[124:127]// 00000000D7EC: D3CD007C 0DF2A572
	v_mfma_f32_16x16x16_f16 v[124:127], a[116:117], v[84:85], v[124:127]// 00000000D7F4: D3CD007C 0DF2A974
	v_mfma_f32_16x16x16_f16 v[124:127], a[118:119], v[86:87], v[124:127]// 00000000D7FC: D3CD007C 0DF2AD76
	v_mfma_f32_16x16x16_f16 v[124:127], a[120:121], v[88:89], v[124:127]// 00000000D804: D3CD007C 0DF2B178
	v_mfma_f32_16x16x16_f16 v[124:127], a[122:123], v[90:91], v[124:127]// 00000000D80C: D3CD007C 0DF2B57A
	v_mfma_f32_16x16x16_f16 v[124:127], a[124:125], v[92:93], v[124:127]// 00000000D814: D3CD007C 0DF2B97C
	v_mfma_f32_16x16x16_f16 v[124:127], a[126:127], v[94:95], v[124:127]// 00000000D81C: D3CD007C 0DF2BD7E
	v_mfma_f32_16x16x16_f16 v[144:147], a[64:65], v[96:97], 0  // 00000000D824: D3CD0090 0A02C140
	v_mfma_f32_16x16x16_f16 v[144:147], a[66:67], v[98:99], v[144:147]// 00000000D82C: D3CD0090 0E42C542
	v_mfma_f32_16x16x16_f16 v[144:147], a[68:69], v[100:101], v[144:147]// 00000000D834: D3CD0090 0E42C944
	v_mfma_f32_16x16x16_f16 v[144:147], a[70:71], v[102:103], v[144:147]// 00000000D83C: D3CD0090 0E42CD46
	v_mfma_f32_16x16x16_f16 v[144:147], a[72:73], v[104:105], v[144:147]// 00000000D844: D3CD0090 0E42D148
	v_mfma_f32_16x16x16_f16 v[144:147], a[74:75], v[106:107], v[144:147]// 00000000D84C: D3CD0090 0E42D54A
	v_mfma_f32_16x16x16_f16 v[144:147], a[76:77], v[108:109], v[144:147]// 00000000D854: D3CD0090 0E42D94C
	v_mfma_f32_16x16x16_f16 v[144:147], a[78:79], v[110:111], v[144:147]// 00000000D85C: D3CD0090 0E42DD4E
	v_mfma_f32_16x16x16_f16 v[148:151], a[80:81], v[96:97], 0  // 00000000D864: D3CD0094 0A02C150
	v_mfma_f32_16x16x16_f16 v[148:151], a[82:83], v[98:99], v[148:151]// 00000000D86C: D3CD0094 0E52C552
	v_mfma_f32_16x16x16_f16 v[148:151], a[84:85], v[100:101], v[148:151]// 00000000D874: D3CD0094 0E52C954
	v_mfma_f32_16x16x16_f16 v[148:151], a[86:87], v[102:103], v[148:151]// 00000000D87C: D3CD0094 0E52CD56
	v_mfma_f32_16x16x16_f16 v[148:151], a[88:89], v[104:105], v[148:151]// 00000000D884: D3CD0094 0E52D158
	v_mfma_f32_16x16x16_f16 v[148:151], a[90:91], v[106:107], v[148:151]// 00000000D88C: D3CD0094 0E52D55A
	v_mfma_f32_16x16x16_f16 v[148:151], a[92:93], v[108:109], v[148:151]// 00000000D894: D3CD0094 0E52D95C
	v_mfma_f32_16x16x16_f16 v[148:151], a[94:95], v[110:111], v[148:151]// 00000000D89C: D3CD0094 0E52DD5E
	v_mfma_f32_16x16x16_f16 v[152:155], a[96:97], v[96:97], 0  // 00000000D8A4: D3CD0098 0A02C160
	v_mfma_f32_16x16x16_f16 v[152:155], a[98:99], v[98:99], v[152:155]// 00000000D8AC: D3CD0098 0E62C562
	v_mfma_f32_16x16x16_f16 v[152:155], a[100:101], v[100:101], v[152:155]// 00000000D8B4: D3CD0098 0E62C964
	v_mfma_f32_16x16x16_f16 v[152:155], a[102:103], v[102:103], v[152:155]// 00000000D8BC: D3CD0098 0E62CD66
	v_mfma_f32_16x16x16_f16 v[152:155], a[104:105], v[104:105], v[152:155]// 00000000D8C4: D3CD0098 0E62D168
	v_mfma_f32_16x16x16_f16 v[152:155], a[106:107], v[106:107], v[152:155]// 00000000D8CC: D3CD0098 0E62D56A
	v_mfma_f32_16x16x16_f16 v[152:155], a[108:109], v[108:109], v[152:155]// 00000000D8D4: D3CD0098 0E62D96C
	v_mfma_f32_16x16x16_f16 v[152:155], a[110:111], v[110:111], v[152:155]// 00000000D8DC: D3CD0098 0E62DD6E
	v_mfma_f32_16x16x16_f16 v[156:159], a[112:113], v[96:97], 0// 00000000D8E4: D3CD009C 0A02C170
	v_mfma_f32_16x16x16_f16 v[156:159], a[114:115], v[98:99], v[156:159]// 00000000D8EC: D3CD009C 0E72C572
	v_mfma_f32_16x16x16_f16 v[156:159], a[116:117], v[100:101], v[156:159]// 00000000D8F4: D3CD009C 0E72C974
	v_mfma_f32_16x16x16_f16 v[156:159], a[118:119], v[102:103], v[156:159]// 00000000D8FC: D3CD009C 0E72CD76
	v_mfma_f32_16x16x16_f16 v[156:159], a[120:121], v[104:105], v[156:159]// 00000000D904: D3CD009C 0E72D178
	v_mfma_f32_16x16x16_f16 v[156:159], a[122:123], v[106:107], v[156:159]// 00000000D90C: D3CD009C 0E72D57A
	v_mfma_f32_16x16x16_f16 v[156:159], a[124:125], v[108:109], v[156:159]// 00000000D914: D3CD009C 0E72D97C
	v_mfma_f32_16x16x16_f16 v[156:159], a[126:127], v[110:111], v[156:159]// 00000000D91C: D3CD009C 0E72DD7E
	s_nop 8                                                    // 00000000D924: BF800008
	s_and_b32 s60, s72, 0xff                                   // 00000000D928: 863CFF48 000000FF
	v_mov_b32_e32 v56, s60                                     // 00000000D930: 7E70023C
	v_lshrrev_b32_e32 v31, 4, v0                               // 00000000D934: 203E0084
	v_mul_i32_i24_e32 v31, 4, v31                              // 00000000D938: 0C3E3E84
	s_mul_i32 s60, s7, 16                                      // 00000000D93C: 923C9007
	v_add_u32_e32 v31, s60, v31                                // 00000000D940: 683E3E3C
	v_add_u32_e32 v32, 1, v31                                  // 00000000D944: 68403E81
	v_add_u32_e32 v33, 2, v31                                  // 00000000D948: 68423E82
	v_add_u32_e32 v34, 3, v31                                  // 00000000D94C: 68443E83
	v_mov_b32_e32 v39, v55                                     // 00000000D950: 7E4E0337
	v_cmp_lt_u32_e64 s[40:41], v31, v56                        // 00000000D954: D0C90028 0002711F
	v_add_u32_e32 v31, 64, v31                                 // 00000000D95C: 683E3EC0
	s_nop 0                                                    // 00000000D960: BF800000
	v_cndmask_b32_e64 v112, v39, v112, s[40:41]                // 00000000D964: D1000070 00A2E127
	v_cmp_lt_u32_e64 s[40:41], v32, v56                        // 00000000D96C: D0C90028 00027120
	v_add_u32_e32 v32, 64, v32                                 // 00000000D974: 684040C0
	s_nop 0                                                    // 00000000D978: BF800000
	v_cndmask_b32_e64 v113, v39, v113, s[40:41]                // 00000000D97C: D1000071 00A2E327
	v_cmp_lt_u32_e64 s[40:41], v33, v56                        // 00000000D984: D0C90028 00027121
	v_add_u32_e32 v33, 64, v33                                 // 00000000D98C: 684242C0
	s_nop 0                                                    // 00000000D990: BF800000
	v_cndmask_b32_e64 v114, v39, v114, s[40:41]                // 00000000D994: D1000072 00A2E527
	v_cmp_lt_u32_e64 s[40:41], v34, v56                        // 00000000D99C: D0C90028 00027122
	v_add_u32_e32 v34, 64, v34                                 // 00000000D9A4: 684444C0
	s_nop 0                                                    // 00000000D9A8: BF800000
	v_cndmask_b32_e64 v115, v39, v115, s[40:41]                // 00000000D9AC: D1000073 00A2E727
	v_cmp_lt_u32_e64 s[40:41], v31, v56                        // 00000000D9B4: D0C90028 0002711F
	v_add_u32_e32 v31, 64, v31                                 // 00000000D9BC: 683E3EC0
	s_nop 0                                                    // 00000000D9C0: BF800000
	v_cndmask_b32_e64 v116, v39, v116, s[40:41]                // 00000000D9C4: D1000074 00A2E927
	v_cmp_lt_u32_e64 s[40:41], v32, v56                        // 00000000D9CC: D0C90028 00027120
	v_add_u32_e32 v32, 64, v32                                 // 00000000D9D4: 684040C0
	s_nop 0                                                    // 00000000D9D8: BF800000
	v_cndmask_b32_e64 v117, v39, v117, s[40:41]                // 00000000D9DC: D1000075 00A2EB27
	v_cmp_lt_u32_e64 s[40:41], v33, v56                        // 00000000D9E4: D0C90028 00027121
	v_add_u32_e32 v33, 64, v33                                 // 00000000D9EC: 684242C0
	s_nop 0                                                    // 00000000D9F0: BF800000
	v_cndmask_b32_e64 v118, v39, v118, s[40:41]                // 00000000D9F4: D1000076 00A2ED27
	v_cmp_lt_u32_e64 s[40:41], v34, v56                        // 00000000D9FC: D0C90028 00027122
	v_add_u32_e32 v34, 64, v34                                 // 00000000DA04: 684444C0
	s_nop 0                                                    // 00000000DA08: BF800000
	v_cndmask_b32_e64 v119, v39, v119, s[40:41]                // 00000000DA0C: D1000077 00A2EF27
	v_cmp_lt_u32_e64 s[40:41], v31, v56                        // 00000000DA14: D0C90028 0002711F
	v_add_u32_e32 v31, 64, v31                                 // 00000000DA1C: 683E3EC0
	s_nop 0                                                    // 00000000DA20: BF800000
	v_cndmask_b32_e64 v120, v39, v120, s[40:41]                // 00000000DA24: D1000078 00A2F127
	v_cmp_lt_u32_e64 s[40:41], v32, v56                        // 00000000DA2C: D0C90028 00027120
	v_add_u32_e32 v32, 64, v32                                 // 00000000DA34: 684040C0
	s_nop 0                                                    // 00000000DA38: BF800000
	v_cndmask_b32_e64 v121, v39, v121, s[40:41]                // 00000000DA3C: D1000079 00A2F327
	v_cmp_lt_u32_e64 s[40:41], v33, v56                        // 00000000DA44: D0C90028 00027121
	v_add_u32_e32 v33, 64, v33                                 // 00000000DA4C: 684242C0
	s_nop 0                                                    // 00000000DA50: BF800000
	v_cndmask_b32_e64 v122, v39, v122, s[40:41]                // 00000000DA54: D100007A 00A2F527
	v_cmp_lt_u32_e64 s[40:41], v34, v56                        // 00000000DA5C: D0C90028 00027122
	v_add_u32_e32 v34, 64, v34                                 // 00000000DA64: 684444C0
	s_nop 0                                                    // 00000000DA68: BF800000
	v_cndmask_b32_e64 v123, v39, v123, s[40:41]                // 00000000DA6C: D100007B 00A2F727
	v_cmp_lt_u32_e64 s[40:41], v31, v56                        // 00000000DA74: D0C90028 0002711F
	v_add_u32_e32 v31, 64, v31                                 // 00000000DA7C: 683E3EC0
	s_nop 0                                                    // 00000000DA80: BF800000
	v_cndmask_b32_e64 v124, v39, v124, s[40:41]                // 00000000DA84: D100007C 00A2F927
	v_cmp_lt_u32_e64 s[40:41], v32, v56                        // 00000000DA8C: D0C90028 00027120
	v_add_u32_e32 v32, 64, v32                                 // 00000000DA94: 684040C0
	s_nop 0                                                    // 00000000DA98: BF800000
	v_cndmask_b32_e64 v125, v39, v125, s[40:41]                // 00000000DA9C: D100007D 00A2FB27
	v_cmp_lt_u32_e64 s[40:41], v33, v56                        // 00000000DAA4: D0C90028 00027121
	v_add_u32_e32 v33, 64, v33                                 // 00000000DAAC: 684242C0
	s_nop 0                                                    // 00000000DAB0: BF800000
	v_cndmask_b32_e64 v126, v39, v126, s[40:41]                // 00000000DAB4: D100007E 00A2FD27
	v_cmp_lt_u32_e64 s[40:41], v34, v56                        // 00000000DABC: D0C90028 00027122
	v_add_u32_e32 v34, 64, v34                                 // 00000000DAC4: 684444C0
	s_nop 0                                                    // 00000000DAC8: BF800000
	v_cndmask_b32_e64 v127, v39, v127, s[40:41]                // 00000000DACC: D100007F 00A2FF27
	s_and_b32 s60, s72, 0xff                                   // 00000000DAD4: 863CFF48 000000FF
	v_mov_b32_e32 v56, s60                                     // 00000000DADC: 7E70023C
	v_lshrrev_b32_e32 v31, 4, v0                               // 00000000DAE0: 203E0084
	v_mul_i32_i24_e32 v31, 4, v31                              // 00000000DAE4: 0C3E3E84
	s_mul_i32 s60, s7, 16                                      // 00000000DAE8: 923C9007
	v_add_u32_e32 v31, s60, v31                                // 00000000DAEC: 683E3E3C
	v_add_u32_e32 v32, 1, v31                                  // 00000000DAF0: 68403E81
	v_add_u32_e32 v33, 2, v31                                  // 00000000DAF4: 68423E82
	v_add_u32_e32 v34, 3, v31                                  // 00000000DAF8: 68443E83
	v_mov_b32_e32 v39, v55                                     // 00000000DAFC: 7E4E0337
	v_cmp_lt_u32_e64 s[40:41], v31, v56                        // 00000000DB00: D0C90028 0002711F
	v_add_u32_e32 v31, 64, v31                                 // 00000000DB08: 683E3EC0
	s_nop 0                                                    // 00000000DB0C: BF800000
	v_cndmask_b32_e64 v144, v39, v144, s[40:41]                // 00000000DB10: D1000090 00A32127
	v_cmp_lt_u32_e64 s[40:41], v32, v56                        // 00000000DB18: D0C90028 00027120
	v_add_u32_e32 v32, 64, v32                                 // 00000000DB20: 684040C0
	s_nop 0                                                    // 00000000DB24: BF800000
	v_cndmask_b32_e64 v145, v39, v145, s[40:41]                // 00000000DB28: D1000091 00A32327
	v_cmp_lt_u32_e64 s[40:41], v33, v56                        // 00000000DB30: D0C90028 00027121
	v_add_u32_e32 v33, 64, v33                                 // 00000000DB38: 684242C0
	s_nop 0                                                    // 00000000DB3C: BF800000
	v_cndmask_b32_e64 v146, v39, v146, s[40:41]                // 00000000DB40: D1000092 00A32527
	v_cmp_lt_u32_e64 s[40:41], v34, v56                        // 00000000DB48: D0C90028 00027122
	v_add_u32_e32 v34, 64, v34                                 // 00000000DB50: 684444C0
	s_nop 0                                                    // 00000000DB54: BF800000
	v_cndmask_b32_e64 v147, v39, v147, s[40:41]                // 00000000DB58: D1000093 00A32727
	v_cmp_lt_u32_e64 s[40:41], v31, v56                        // 00000000DB60: D0C90028 0002711F
	v_add_u32_e32 v31, 64, v31                                 // 00000000DB68: 683E3EC0
	s_nop 0                                                    // 00000000DB6C: BF800000
	v_cndmask_b32_e64 v148, v39, v148, s[40:41]                // 00000000DB70: D1000094 00A32927
	v_cmp_lt_u32_e64 s[40:41], v32, v56                        // 00000000DB78: D0C90028 00027120
	v_add_u32_e32 v32, 64, v32                                 // 00000000DB80: 684040C0
	s_nop 0                                                    // 00000000DB84: BF800000
	v_cndmask_b32_e64 v149, v39, v149, s[40:41]                // 00000000DB88: D1000095 00A32B27
	v_cmp_lt_u32_e64 s[40:41], v33, v56                        // 00000000DB90: D0C90028 00027121
	v_add_u32_e32 v33, 64, v33                                 // 00000000DB98: 684242C0
	s_nop 0                                                    // 00000000DB9C: BF800000
	v_cndmask_b32_e64 v150, v39, v150, s[40:41]                // 00000000DBA0: D1000096 00A32D27
	v_cmp_lt_u32_e64 s[40:41], v34, v56                        // 00000000DBA8: D0C90028 00027122
	v_add_u32_e32 v34, 64, v34                                 // 00000000DBB0: 684444C0
	s_nop 0                                                    // 00000000DBB4: BF800000
	v_cndmask_b32_e64 v151, v39, v151, s[40:41]                // 00000000DBB8: D1000097 00A32F27
	v_cmp_lt_u32_e64 s[40:41], v31, v56                        // 00000000DBC0: D0C90028 0002711F
	v_add_u32_e32 v31, 64, v31                                 // 00000000DBC8: 683E3EC0
	s_nop 0                                                    // 00000000DBCC: BF800000
	v_cndmask_b32_e64 v152, v39, v152, s[40:41]                // 00000000DBD0: D1000098 00A33127
	v_cmp_lt_u32_e64 s[40:41], v32, v56                        // 00000000DBD8: D0C90028 00027120
	v_add_u32_e32 v32, 64, v32                                 // 00000000DBE0: 684040C0
	s_nop 0                                                    // 00000000DBE4: BF800000
	v_cndmask_b32_e64 v153, v39, v153, s[40:41]                // 00000000DBE8: D1000099 00A33327
	v_cmp_lt_u32_e64 s[40:41], v33, v56                        // 00000000DBF0: D0C90028 00027121
	v_add_u32_e32 v33, 64, v33                                 // 00000000DBF8: 684242C0
	s_nop 0                                                    // 00000000DBFC: BF800000
	v_cndmask_b32_e64 v154, v39, v154, s[40:41]                // 00000000DC00: D100009A 00A33527
	v_cmp_lt_u32_e64 s[40:41], v34, v56                        // 00000000DC08: D0C90028 00027122
	v_add_u32_e32 v34, 64, v34                                 // 00000000DC10: 684444C0
	s_nop 0                                                    // 00000000DC14: BF800000
	v_cndmask_b32_e64 v155, v39, v155, s[40:41]                // 00000000DC18: D100009B 00A33727
	v_cmp_lt_u32_e64 s[40:41], v31, v56                        // 00000000DC20: D0C90028 0002711F
	v_add_u32_e32 v31, 64, v31                                 // 00000000DC28: 683E3EC0
	s_nop 0                                                    // 00000000DC2C: BF800000
	v_cndmask_b32_e64 v156, v39, v156, s[40:41]                // 00000000DC30: D100009C 00A33927
	v_cmp_lt_u32_e64 s[40:41], v32, v56                        // 00000000DC38: D0C90028 00027120
	v_add_u32_e32 v32, 64, v32                                 // 00000000DC40: 684040C0
	s_nop 0                                                    // 00000000DC44: BF800000
	v_cndmask_b32_e64 v157, v39, v157, s[40:41]                // 00000000DC48: D100009D 00A33B27
	v_cmp_lt_u32_e64 s[40:41], v33, v56                        // 00000000DC50: D0C90028 00027121
	v_add_u32_e32 v33, 64, v33                                 // 00000000DC58: 684242C0
	s_nop 0                                                    // 00000000DC5C: BF800000
	v_cndmask_b32_e64 v158, v39, v158, s[40:41]                // 00000000DC60: D100009E 00A33D27
	v_cmp_lt_u32_e64 s[40:41], v34, v56                        // 00000000DC68: D0C90028 00027122
	v_add_u32_e32 v34, 64, v34                                 // 00000000DC70: 684444C0
	s_nop 0                                                    // 00000000DC74: BF800000
	v_cndmask_b32_e64 v159, v39, v159, s[40:41]                // 00000000DC78: D100009F 00A33F27
	s_nop 8                                                    // 00000000DC80: BF800008
	v_mov_b32_e32 v50, v112                                    // 00000000DC84: 7E640370
	v_max3_f32 v50, v112, v113, v50                            // 00000000DC88: D1D30032 04CAE370
	v_max3_f32 v50, v114, v115, v50                            // 00000000DC90: D1D30032 04CAE772
	v_max3_f32 v50, v116, v117, v50                            // 00000000DC98: D1D30032 04CAEB74
	v_max3_f32 v50, v118, v119, v50                            // 00000000DCA0: D1D30032 04CAEF76
	v_max3_f32 v50, v120, v121, v50                            // 00000000DCA8: D1D30032 04CAF378
	v_max3_f32 v50, v122, v123, v50                            // 00000000DCB0: D1D30032 04CAF77A
	v_max3_f32 v50, v124, v125, v50                            // 00000000DCB8: D1D30032 04CAFB7C
	v_max3_f32 v50, v126, v127, v50                            // 00000000DCC0: D1D30032 04CAFF7E
	ds_write_b32 v11, v50                                      // 00000000DCC8: D81A0000 0000320B
	s_waitcnt lgkmcnt(0)                                       // 00000000DCD0: BF8CC07F
	s_barrier                                                  // 00000000DCD4: BF8A0000
	ds_read_b32 v64, v10                                       // 00000000DCD8: D86C0000 4000000A
	ds_read_b32 v65, v10 offset:64                             // 00000000DCE0: D86C0040 4100000A
	ds_read_b32 v66, v10 offset:128                            // 00000000DCE8: D86C0080 4200000A
	ds_read_b32 v67, v10 offset:192                            // 00000000DCF0: D86C00C0 4300000A
	ds_read_b32 v68, v10 offset:256                            // 00000000DCF8: D86C0100 4400000A
	ds_read_b32 v69, v10 offset:320                            // 00000000DD00: D86C0140 4500000A
	ds_read_b32 v70, v10 offset:384                            // 00000000DD08: D86C0180 4600000A
	ds_read_b32 v71, v10 offset:448                            // 00000000DD10: D86C01C0 4700000A
	ds_read_b32 v72, v10 offset:512                            // 00000000DD18: D86C0200 4800000A
	ds_read_b32 v73, v10 offset:576                            // 00000000DD20: D86C0240 4900000A
	ds_read_b32 v74, v10 offset:640                            // 00000000DD28: D86C0280 4A00000A
	ds_read_b32 v75, v10 offset:704                            // 00000000DD30: D86C02C0 4B00000A
	ds_read_b32 v76, v10 offset:768                            // 00000000DD38: D86C0300 4C00000A
	ds_read_b32 v77, v10 offset:832                            // 00000000DD40: D86C0340 4D00000A
	ds_read_b32 v78, v10 offset:896                            // 00000000DD48: D86C0380 4E00000A
	ds_read_b32 v79, v10 offset:960                            // 00000000DD50: D86C03C0 4F00000A
	s_waitcnt lgkmcnt(0)                                       // 00000000DD58: BF8CC07F
	v_max3_f32 v50, v64, v65, v50                              // 00000000DD5C: D1D30032 04CA8340
	v_max3_f32 v50, v66, v67, v50                              // 00000000DD64: D1D30032 04CA8742
	v_max3_f32 v50, v68, v69, v50                              // 00000000DD6C: D1D30032 04CA8B44
	v_max3_f32 v50, v70, v71, v50                              // 00000000DD74: D1D30032 04CA8F46
	v_max3_f32 v50, v72, v73, v50                              // 00000000DD7C: D1D30032 04CA9348
	v_max3_f32 v50, v74, v75, v50                              // 00000000DD84: D1D30032 04CA974A
	v_max3_f32 v50, v76, v77, v50                              // 00000000DD8C: D1D30032 04CA9B4C
	v_max3_f32 v50, v78, v79, v50                              // 00000000DD94: D1D30032 04CA9F4E
	v_cmp_eq_u32_e64 s[40:41], v55, v14                        // 00000000DD9C: D0CA0028 00021D37
	s_nop 1                                                    // 00000000DDA4: BF800001
	v_max_f32_e32 v16, v50, v14                                // 00000000DDA8: 16201D32
	v_sub_f32_e32 v51, v14, v16                                // 00000000DDAC: 0466210E
	v_cndmask_b32_e64 v51, v51, 0, s[40:41]                    // 00000000DDB0: D1000033 00A10133
	v_mov_b32_e32 v14, v16                                     // 00000000DDB8: 7E1C0310
	v_mul_f32_e32 v53, s64, v16                                // 00000000DDBC: 0A6A2040
	v_mul_f32_e32 v51, s64, v51                                // 00000000DDC0: 0A666640
	v_exp_f32_e32 v51, v51                                     // 00000000DDC4: 7E664133
	v_fma_f32 v112, v112, s64, -v53                            // 00000000DDC8: D1CB0070 84D48170
	v_fma_f32 v113, v113, s64, -v53                            // 00000000DDD0: D1CB0071 84D48171
	v_fma_f32 v114, v114, s64, -v53                            // 00000000DDD8: D1CB0072 84D48172
	v_fma_f32 v115, v115, s64, -v53                            // 00000000DDE0: D1CB0073 84D48173
	v_fma_f32 v116, v116, s64, -v53                            // 00000000DDE8: D1CB0074 84D48174
	v_fma_f32 v117, v117, s64, -v53                            // 00000000DDF0: D1CB0075 84D48175
	v_fma_f32 v118, v118, s64, -v53                            // 00000000DDF8: D1CB0076 84D48176
	v_fma_f32 v119, v119, s64, -v53                            // 00000000DE00: D1CB0077 84D48177
	v_fma_f32 v120, v120, s64, -v53                            // 00000000DE08: D1CB0078 84D48178
	v_fma_f32 v121, v121, s64, -v53                            // 00000000DE10: D1CB0079 84D48179
	v_fma_f32 v122, v122, s64, -v53                            // 00000000DE18: D1CB007A 84D4817A
	v_fma_f32 v123, v123, s64, -v53                            // 00000000DE20: D1CB007B 84D4817B
	v_fma_f32 v124, v124, s64, -v53                            // 00000000DE28: D1CB007C 84D4817C
	v_fma_f32 v125, v125, s64, -v53                            // 00000000DE30: D1CB007D 84D4817D
	v_fma_f32 v126, v126, s64, -v53                            // 00000000DE38: D1CB007E 84D4817E
	v_fma_f32 v127, v127, s64, -v53                            // 00000000DE40: D1CB007F 84D4817F
	v_exp_f32_e32 v112, v112                                   // 00000000DE48: 7EE04170
	v_exp_f32_e32 v113, v113                                   // 00000000DE4C: 7EE24171
	v_exp_f32_e32 v114, v114                                   // 00000000DE50: 7EE44172
	v_exp_f32_e32 v115, v115                                   // 00000000DE54: 7EE64173
	v_exp_f32_e32 v116, v116                                   // 00000000DE58: 7EE84174
	v_exp_f32_e32 v117, v117                                   // 00000000DE5C: 7EEA4175
	v_exp_f32_e32 v118, v118                                   // 00000000DE60: 7EEC4176
	v_exp_f32_e32 v119, v119                                   // 00000000DE64: 7EEE4177
	v_exp_f32_e32 v120, v120                                   // 00000000DE68: 7EF04178
	v_exp_f32_e32 v121, v121                                   // 00000000DE6C: 7EF24179
	v_exp_f32_e32 v122, v122                                   // 00000000DE70: 7EF4417A
	v_exp_f32_e32 v123, v123                                   // 00000000DE74: 7EF6417B
	v_exp_f32_e32 v124, v124                                   // 00000000DE78: 7EF8417C
	v_exp_f32_e32 v125, v125                                   // 00000000DE7C: 7EFA417D
	v_exp_f32_e32 v126, v126                                   // 00000000DE80: 7EFC417E
	v_exp_f32_e32 v127, v127                                   // 00000000DE84: 7EFE417F
	v_mul_f32_e32 v43, v51, v43                                // 00000000DE88: 0A565733
	v_mov_b32_e32 v45, v112                                    // 00000000DE8C: 7E5A0370
	v_add_f32_e32 v45, v113, v45                               // 00000000DE90: 025A5B71
	v_add_f32_e32 v45, v114, v45                               // 00000000DE94: 025A5B72
	v_add_f32_e32 v45, v115, v45                               // 00000000DE98: 025A5B73
	v_add_f32_e32 v45, v116, v45                               // 00000000DE9C: 025A5B74
	v_add_f32_e32 v45, v117, v45                               // 00000000DEA0: 025A5B75
	v_add_f32_e32 v45, v118, v45                               // 00000000DEA4: 025A5B76
	v_add_f32_e32 v45, v119, v45                               // 00000000DEA8: 025A5B77
	v_add_f32_e32 v45, v120, v45                               // 00000000DEAC: 025A5B78
	v_add_f32_e32 v45, v121, v45                               // 00000000DEB0: 025A5B79
	v_add_f32_e32 v45, v122, v45                               // 00000000DEB4: 025A5B7A
	v_add_f32_e32 v45, v123, v45                               // 00000000DEB8: 025A5B7B
	v_add_f32_e32 v45, v124, v45                               // 00000000DEBC: 025A5B7C
	v_add_f32_e32 v45, v125, v45                               // 00000000DEC0: 025A5B7D
	v_add_f32_e32 v45, v126, v45                               // 00000000DEC4: 025A5B7E
	v_add_f32_e32 v45, v127, v45                               // 00000000DEC8: 025A5B7F
	v_add_f32_e32 v43, v45, v43                                // 00000000DECC: 0256572D
	v_cvt_pkrtz_f16_f32 v39, v112, v113                        // 00000000DED0: D2960027 0002E370
	v_mov_b32_e32 v112, v39                                    // 00000000DED8: 7EE00327
	v_cvt_pkrtz_f16_f32 v39, v114, v115                        // 00000000DEDC: D2960027 0002E772
	v_mov_b32_e32 v113, v39                                    // 00000000DEE4: 7EE20327
	v_cvt_pkrtz_f16_f32 v39, v116, v117                        // 00000000DEE8: D2960027 0002EB74
	v_mov_b32_e32 v114, v39                                    // 00000000DEF0: 7EE40327
	v_cvt_pkrtz_f16_f32 v39, v118, v119                        // 00000000DEF4: D2960027 0002EF76
	v_mov_b32_e32 v115, v39                                    // 00000000DEFC: 7EE60327
	v_cvt_pkrtz_f16_f32 v39, v120, v121                        // 00000000DF00: D2960027 0002F378
	v_mov_b32_e32 v116, v39                                    // 00000000DF08: 7EE80327
	v_cvt_pkrtz_f16_f32 v39, v122, v123                        // 00000000DF0C: D2960027 0002F77A
	v_mov_b32_e32 v117, v39                                    // 00000000DF14: 7EEA0327
	v_cvt_pkrtz_f16_f32 v39, v124, v125                        // 00000000DF18: D2960027 0002FB7C
	v_mov_b32_e32 v118, v39                                    // 00000000DF20: 7EEC0327
	v_cvt_pkrtz_f16_f32 v39, v126, v127                        // 00000000DF24: D2960027 0002FF7E
	v_mov_b32_e32 v119, v39                                    // 00000000DF2C: 7EEE0327
	ds_write_b64 v13, v[112:113] offset:4096                   // 00000000DF30: D89A1000 0000700D
	ds_write_b64 v13, v[114:115] offset:6144                   // 00000000DF38: D89A1800 0000720D
	ds_write_b64 v13, v[116:117] offset:8192                   // 00000000DF40: D89A2000 0000740D
	ds_write_b64 v13, v[118:119] offset:10240                  // 00000000DF48: D89A2800 0000760D
	s_waitcnt lgkmcnt(0)                                       // 00000000DF50: BF8CC07F
	s_barrier                                                  // 00000000DF54: BF8A0000
	ds_read_b64 v[112:113], v12 offset:4096                    // 00000000DF58: D8EC1000 7000000C
	ds_read_b64 v[114:115], v12 offset:4224                    // 00000000DF60: D8EC1080 7200000C
	ds_read_b64 v[116:117], v12 offset:5120                    // 00000000DF68: D8EC1400 7400000C
	ds_read_b64 v[118:119], v12 offset:5248                    // 00000000DF70: D8EC1480 7600000C
	ds_read_b64 v[120:121], v12 offset:6144                    // 00000000DF78: D8EC1800 7800000C
	ds_read_b64 v[122:123], v12 offset:6272                    // 00000000DF80: D8EC1880 7A00000C
	ds_read_b64 v[124:125], v12 offset:7168                    // 00000000DF88: D8EC1C00 7C00000C
	ds_read_b64 v[126:127], v12 offset:7296                    // 00000000DF90: D8EC1C80 7E00000C
	ds_read_b64 v[128:129], v12 offset:8192                    // 00000000DF98: D8EC2000 8000000C
	ds_read_b64 v[130:131], v12 offset:8320                    // 00000000DFA0: D8EC2080 8200000C
	ds_read_b64 v[132:133], v12 offset:9216                    // 00000000DFA8: D8EC2400 8400000C
	ds_read_b64 v[134:135], v12 offset:9344                    // 00000000DFB0: D8EC2480 8600000C
	ds_read_b64 v[136:137], v12 offset:10240                   // 00000000DFB8: D8EC2800 8800000C
	ds_read_b64 v[138:139], v12 offset:10368                   // 00000000DFC0: D8EC2880 8A00000C
	ds_read_b64 v[140:141], v12 offset:11264                   // 00000000DFC8: D8EC2C00 8C00000C
	ds_read_b64 v[142:143], v12 offset:11392                   // 00000000DFD0: D8EC2C80 8E00000C
	s_waitcnt lgkmcnt(0)                                       // 00000000DFD8: BF8CC07F
	s_nop 8                                                    // 00000000DFDC: BF800008
	v_mov_b32_e32 v50, v144                                    // 00000000DFE0: 7E640390
	v_max3_f32 v50, v144, v145, v50                            // 00000000DFE4: D1D30032 04CB2390
	v_max3_f32 v50, v146, v147, v50                            // 00000000DFEC: D1D30032 04CB2792
	v_max3_f32 v50, v148, v149, v50                            // 00000000DFF4: D1D30032 04CB2B94
	v_max3_f32 v50, v150, v151, v50                            // 00000000DFFC: D1D30032 04CB2F96
	v_max3_f32 v50, v152, v153, v50                            // 00000000E004: D1D30032 04CB3398
	v_max3_f32 v50, v154, v155, v50                            // 00000000E00C: D1D30032 04CB379A
	v_max3_f32 v50, v156, v157, v50                            // 00000000E014: D1D30032 04CB3B9C
	v_max3_f32 v50, v158, v159, v50                            // 00000000E01C: D1D30032 04CB3F9E
	ds_write_b32 v11, v50                                      // 00000000E024: D81A0000 0000320B
	s_waitcnt lgkmcnt(0)                                       // 00000000E02C: BF8CC07F
	s_barrier                                                  // 00000000E030: BF8A0000
	ds_read_b32 v64, v10                                       // 00000000E034: D86C0000 4000000A
	ds_read_b32 v65, v10 offset:64                             // 00000000E03C: D86C0040 4100000A
	ds_read_b32 v66, v10 offset:128                            // 00000000E044: D86C0080 4200000A
	ds_read_b32 v67, v10 offset:192                            // 00000000E04C: D86C00C0 4300000A
	ds_read_b32 v68, v10 offset:256                            // 00000000E054: D86C0100 4400000A
	ds_read_b32 v69, v10 offset:320                            // 00000000E05C: D86C0140 4500000A
	ds_read_b32 v70, v10 offset:384                            // 00000000E064: D86C0180 4600000A
	ds_read_b32 v71, v10 offset:448                            // 00000000E06C: D86C01C0 4700000A
	ds_read_b32 v72, v10 offset:512                            // 00000000E074: D86C0200 4800000A
	ds_read_b32 v73, v10 offset:576                            // 00000000E07C: D86C0240 4900000A
	ds_read_b32 v74, v10 offset:640                            // 00000000E084: D86C0280 4A00000A
	ds_read_b32 v75, v10 offset:704                            // 00000000E08C: D86C02C0 4B00000A
	ds_read_b32 v76, v10 offset:768                            // 00000000E094: D86C0300 4C00000A
	ds_read_b32 v77, v10 offset:832                            // 00000000E09C: D86C0340 4D00000A
	ds_read_b32 v78, v10 offset:896                            // 00000000E0A4: D86C0380 4E00000A
	ds_read_b32 v79, v10 offset:960                            // 00000000E0AC: D86C03C0 4F00000A
	s_waitcnt lgkmcnt(0)                                       // 00000000E0B4: BF8CC07F
	v_max3_f32 v50, v64, v65, v50                              // 00000000E0B8: D1D30032 04CA8340
	v_max3_f32 v50, v66, v67, v50                              // 00000000E0C0: D1D30032 04CA8742
	v_max3_f32 v50, v68, v69, v50                              // 00000000E0C8: D1D30032 04CA8B44
	v_max3_f32 v50, v70, v71, v50                              // 00000000E0D0: D1D30032 04CA8F46
	v_max3_f32 v50, v72, v73, v50                              // 00000000E0D8: D1D30032 04CA9348
	v_max3_f32 v50, v74, v75, v50                              // 00000000E0E0: D1D30032 04CA974A
	v_max3_f32 v50, v76, v77, v50                              // 00000000E0E8: D1D30032 04CA9B4C
	v_max3_f32 v50, v78, v79, v50                              // 00000000E0F0: D1D30032 04CA9F4E
	v_cmp_eq_u32_e64 s[40:41], v55, v15                        // 00000000E0F8: D0CA0028 00021F37
	s_nop 1                                                    // 00000000E100: BF800001
	v_max_f32_e32 v16, v50, v15                                // 00000000E104: 16201F32
	v_sub_f32_e32 v52, v15, v16                                // 00000000E108: 0468210F
	v_cndmask_b32_e64 v52, v52, 0, s[40:41]                    // 00000000E10C: D1000034 00A10134
	v_mov_b32_e32 v15, v16                                     // 00000000E114: 7E1E0310
	v_mul_f32_e32 v53, s64, v16                                // 00000000E118: 0A6A2040
	v_mul_f32_e32 v52, s64, v52                                // 00000000E11C: 0A686840
	v_exp_f32_e32 v52, v52                                     // 00000000E120: 7E684134
	v_fma_f32 v144, v144, s64, -v53                            // 00000000E124: D1CB0090 84D48190
	v_fma_f32 v145, v145, s64, -v53                            // 00000000E12C: D1CB0091 84D48191
	v_fma_f32 v146, v146, s64, -v53                            // 00000000E134: D1CB0092 84D48192
	v_fma_f32 v147, v147, s64, -v53                            // 00000000E13C: D1CB0093 84D48193
	v_fma_f32 v148, v148, s64, -v53                            // 00000000E144: D1CB0094 84D48194
	v_fma_f32 v149, v149, s64, -v53                            // 00000000E14C: D1CB0095 84D48195
	v_fma_f32 v150, v150, s64, -v53                            // 00000000E154: D1CB0096 84D48196
	v_fma_f32 v151, v151, s64, -v53                            // 00000000E15C: D1CB0097 84D48197
	v_fma_f32 v152, v152, s64, -v53                            // 00000000E164: D1CB0098 84D48198
	v_fma_f32 v153, v153, s64, -v53                            // 00000000E16C: D1CB0099 84D48199
	v_fma_f32 v154, v154, s64, -v53                            // 00000000E174: D1CB009A 84D4819A
	v_fma_f32 v155, v155, s64, -v53                            // 00000000E17C: D1CB009B 84D4819B
	v_fma_f32 v156, v156, s64, -v53                            // 00000000E184: D1CB009C 84D4819C
	v_fma_f32 v157, v157, s64, -v53                            // 00000000E18C: D1CB009D 84D4819D
	v_fma_f32 v158, v158, s64, -v53                            // 00000000E194: D1CB009E 84D4819E
	v_fma_f32 v159, v159, s64, -v53                            // 00000000E19C: D1CB009F 84D4819F
	v_exp_f32_e32 v144, v144                                   // 00000000E1A4: 7F204190
	v_exp_f32_e32 v145, v145                                   // 00000000E1A8: 7F224191
	v_exp_f32_e32 v146, v146                                   // 00000000E1AC: 7F244192
	v_exp_f32_e32 v147, v147                                   // 00000000E1B0: 7F264193
	v_exp_f32_e32 v148, v148                                   // 00000000E1B4: 7F284194
	v_exp_f32_e32 v149, v149                                   // 00000000E1B8: 7F2A4195
	v_exp_f32_e32 v150, v150                                   // 00000000E1BC: 7F2C4196
	v_exp_f32_e32 v151, v151                                   // 00000000E1C0: 7F2E4197
	v_exp_f32_e32 v152, v152                                   // 00000000E1C4: 7F304198
	v_exp_f32_e32 v153, v153                                   // 00000000E1C8: 7F324199
	v_exp_f32_e32 v154, v154                                   // 00000000E1CC: 7F34419A
	v_exp_f32_e32 v155, v155                                   // 00000000E1D0: 7F36419B
	v_exp_f32_e32 v156, v156                                   // 00000000E1D4: 7F38419C
	v_exp_f32_e32 v157, v157                                   // 00000000E1D8: 7F3A419D
	v_exp_f32_e32 v158, v158                                   // 00000000E1DC: 7F3C419E
	v_exp_f32_e32 v159, v159                                   // 00000000E1E0: 7F3E419F
	v_mul_f32_e32 v44, v52, v44                                // 00000000E1E4: 0A585934
	v_mov_b32_e32 v45, v144                                    // 00000000E1E8: 7E5A0390
	v_add_f32_e32 v45, v145, v45                               // 00000000E1EC: 025A5B91
	v_add_f32_e32 v45, v146, v45                               // 00000000E1F0: 025A5B92
	v_add_f32_e32 v45, v147, v45                               // 00000000E1F4: 025A5B93
	v_add_f32_e32 v45, v148, v45                               // 00000000E1F8: 025A5B94
	v_add_f32_e32 v45, v149, v45                               // 00000000E1FC: 025A5B95
	v_add_f32_e32 v45, v150, v45                               // 00000000E200: 025A5B96
	v_add_f32_e32 v45, v151, v45                               // 00000000E204: 025A5B97
	v_add_f32_e32 v45, v152, v45                               // 00000000E208: 025A5B98
	v_add_f32_e32 v45, v153, v45                               // 00000000E20C: 025A5B99
	v_add_f32_e32 v45, v154, v45                               // 00000000E210: 025A5B9A
	v_add_f32_e32 v45, v155, v45                               // 00000000E214: 025A5B9B
	v_add_f32_e32 v45, v156, v45                               // 00000000E218: 025A5B9C
	v_add_f32_e32 v45, v157, v45                               // 00000000E21C: 025A5B9D
	v_add_f32_e32 v45, v158, v45                               // 00000000E220: 025A5B9E
	v_add_f32_e32 v45, v159, v45                               // 00000000E224: 025A5B9F
	v_add_f32_e32 v44, v45, v44                                // 00000000E228: 0258592D
	v_cvt_pkrtz_f16_f32 v39, v144, v145                        // 00000000E22C: D2960027 00032390
	v_mov_b32_e32 v144, v39                                    // 00000000E234: 7F200327
	v_cvt_pkrtz_f16_f32 v39, v146, v147                        // 00000000E238: D2960027 00032792
	v_mov_b32_e32 v145, v39                                    // 00000000E240: 7F220327
	v_cvt_pkrtz_f16_f32 v39, v148, v149                        // 00000000E244: D2960027 00032B94
	v_mov_b32_e32 v146, v39                                    // 00000000E24C: 7F240327
	v_cvt_pkrtz_f16_f32 v39, v150, v151                        // 00000000E250: D2960027 00032F96
	v_mov_b32_e32 v147, v39                                    // 00000000E258: 7F260327
	v_cvt_pkrtz_f16_f32 v39, v152, v153                        // 00000000E25C: D2960027 00033398
	v_mov_b32_e32 v148, v39                                    // 00000000E264: 7F280327
	v_cvt_pkrtz_f16_f32 v39, v154, v155                        // 00000000E268: D2960027 0003379A
	v_mov_b32_e32 v149, v39                                    // 00000000E270: 7F2A0327
	v_cvt_pkrtz_f16_f32 v39, v156, v157                        // 00000000E274: D2960027 00033B9C
	v_mov_b32_e32 v150, v39                                    // 00000000E27C: 7F2C0327
	v_cvt_pkrtz_f16_f32 v39, v158, v159                        // 00000000E280: D2960027 00033F9E
	v_mov_b32_e32 v151, v39                                    // 00000000E288: 7F2E0327
	ds_write_b64 v13, v[144:145] offset:4096                   // 00000000E28C: D89A1000 0000900D
	ds_write_b64 v13, v[146:147] offset:6144                   // 00000000E294: D89A1800 0000920D
	ds_write_b64 v13, v[148:149] offset:8192                   // 00000000E29C: D89A2000 0000940D
	ds_write_b64 v13, v[150:151] offset:10240                  // 00000000E2A4: D89A2800 0000960D
	s_waitcnt lgkmcnt(0)                                       // 00000000E2AC: BF8CC07F
	s_barrier                                                  // 00000000E2B0: BF8A0000
	ds_read_b64 v[144:145], v12 offset:4096                    // 00000000E2B4: D8EC1000 9000000C
	ds_read_b64 v[146:147], v12 offset:4224                    // 00000000E2BC: D8EC1080 9200000C
	ds_read_b64 v[148:149], v12 offset:5120                    // 00000000E2C4: D8EC1400 9400000C
	ds_read_b64 v[150:151], v12 offset:5248                    // 00000000E2CC: D8EC1480 9600000C
	ds_read_b64 v[152:153], v12 offset:6144                    // 00000000E2D4: D8EC1800 9800000C
	ds_read_b64 v[154:155], v12 offset:6272                    // 00000000E2DC: D8EC1880 9A00000C
	ds_read_b64 v[156:157], v12 offset:7168                    // 00000000E2E4: D8EC1C00 9C00000C
	ds_read_b64 v[158:159], v12 offset:7296                    // 00000000E2EC: D8EC1C80 9E00000C
	ds_read_b64 v[160:161], v12 offset:8192                    // 00000000E2F4: D8EC2000 A000000C
	ds_read_b64 v[162:163], v12 offset:8320                    // 00000000E2FC: D8EC2080 A200000C
	ds_read_b64 v[164:165], v12 offset:9216                    // 00000000E304: D8EC2400 A400000C
	ds_read_b64 v[166:167], v12 offset:9344                    // 00000000E30C: D8EC2480 A600000C
	ds_read_b64 v[168:169], v12 offset:10240                   // 00000000E314: D8EC2800 A800000C
	ds_read_b64 v[170:171], v12 offset:10368                   // 00000000E31C: D8EC2880 AA00000C
	ds_read_b64 v[172:173], v12 offset:11264                   // 00000000E324: D8EC2C00 AC00000C
	ds_read_b64 v[174:175], v12 offset:11392                   // 00000000E32C: D8EC2C80 AE00000C
	s_waitcnt lgkmcnt(0)                                       // 00000000E334: BF8CC07F
	v_mul_f32_e32 v176, v51, v176                              // 00000000E338: 0B616133
	v_mul_f32_e32 v177, v51, v177                              // 00000000E33C: 0B636333
	v_mul_f32_e32 v178, v51, v178                              // 00000000E340: 0B656533
	v_mul_f32_e32 v179, v51, v179                              // 00000000E344: 0B676733
	v_mul_f32_e32 v180, v51, v180                              // 00000000E348: 0B696933
	v_mul_f32_e32 v181, v51, v181                              // 00000000E34C: 0B6B6B33
	v_mul_f32_e32 v182, v51, v182                              // 00000000E350: 0B6D6D33
	v_mul_f32_e32 v183, v51, v183                              // 00000000E354: 0B6F6F33
	v_mul_f32_e32 v184, v52, v184                              // 00000000E358: 0B717134
	v_mul_f32_e32 v185, v52, v185                              // 00000000E35C: 0B737334
	v_mul_f32_e32 v186, v52, v186                              // 00000000E360: 0B757534
	v_mul_f32_e32 v187, v52, v187                              // 00000000E364: 0B777734
	v_mul_f32_e32 v188, v52, v188                              // 00000000E368: 0B797934
	v_mul_f32_e32 v189, v52, v189                              // 00000000E36C: 0B7B7B34
	v_mul_f32_e32 v190, v52, v190                              // 00000000E370: 0B7D7D34
	v_mul_f32_e32 v191, v52, v191                              // 00000000E374: 0B7F7F34
	s_waitcnt vmcnt(0)                                         // 00000000E378: BF8C0F70
	s_barrier                                                  // 00000000E37C: BF8A0000
	v_mfma_f32_16x16x16_f16 v[176:179], a[192:193], v[112:113], v[176:179]// 00000000E380: D3CD00B0 0EC2E1C0
	v_mfma_f32_16x16x16_f16 v[176:179], a[194:195], v[114:115], v[176:179]// 00000000E388: D3CD00B0 0EC2E5C2
	v_mfma_f32_16x16x16_f16 v[176:179], a[196:197], v[116:117], v[176:179]// 00000000E390: D3CD00B0 0EC2E9C4
	v_mfma_f32_16x16x16_f16 v[176:179], a[198:199], v[118:119], v[176:179]// 00000000E398: D3CD00B0 0EC2EDC6
	v_mfma_f32_16x16x16_f16 v[176:179], a[200:201], v[120:121], v[176:179]// 00000000E3A0: D3CD00B0 0EC2F1C8
	v_mfma_f32_16x16x16_f16 v[176:179], a[202:203], v[122:123], v[176:179]// 00000000E3A8: D3CD00B0 0EC2F5CA
	v_mfma_f32_16x16x16_f16 v[176:179], a[204:205], v[124:125], v[176:179]// 00000000E3B0: D3CD00B0 0EC2F9CC
	v_mfma_f32_16x16x16_f16 v[176:179], a[206:207], v[126:127], v[176:179]// 00000000E3B8: D3CD00B0 0EC2FDCE
	v_mfma_f32_16x16x16_f16 v[176:179], a[208:209], v[128:129], v[176:179]// 00000000E3C0: D3CD00B0 0EC301D0
	v_mfma_f32_16x16x16_f16 v[176:179], a[210:211], v[130:131], v[176:179]// 00000000E3C8: D3CD00B0 0EC305D2
	v_mfma_f32_16x16x16_f16 v[176:179], a[212:213], v[132:133], v[176:179]// 00000000E3D0: D3CD00B0 0EC309D4
	v_mfma_f32_16x16x16_f16 v[176:179], a[214:215], v[134:135], v[176:179]// 00000000E3D8: D3CD00B0 0EC30DD6
	v_mfma_f32_16x16x16_f16 v[176:179], a[216:217], v[136:137], v[176:179]// 00000000E3E0: D3CD00B0 0EC311D8
	v_mfma_f32_16x16x16_f16 v[176:179], a[218:219], v[138:139], v[176:179]// 00000000E3E8: D3CD00B0 0EC315DA
	v_mfma_f32_16x16x16_f16 v[176:179], a[220:221], v[140:141], v[176:179]// 00000000E3F0: D3CD00B0 0EC319DC
	v_mfma_f32_16x16x16_f16 v[176:179], a[222:223], v[142:143], v[176:179]// 00000000E3F8: D3CD00B0 0EC31DDE
	v_mfma_f32_16x16x16_f16 v[180:183], a[224:225], v[112:113], v[180:183]// 00000000E400: D3CD00B4 0ED2E1E0
	v_mfma_f32_16x16x16_f16 v[180:183], a[226:227], v[114:115], v[180:183]// 00000000E408: D3CD00B4 0ED2E5E2
	v_mfma_f32_16x16x16_f16 v[180:183], a[228:229], v[116:117], v[180:183]// 00000000E410: D3CD00B4 0ED2E9E4
	v_mfma_f32_16x16x16_f16 v[180:183], a[230:231], v[118:119], v[180:183]// 00000000E418: D3CD00B4 0ED2EDE6
	v_mfma_f32_16x16x16_f16 v[180:183], a[232:233], v[120:121], v[180:183]// 00000000E420: D3CD00B4 0ED2F1E8
	v_mfma_f32_16x16x16_f16 v[180:183], a[234:235], v[122:123], v[180:183]// 00000000E428: D3CD00B4 0ED2F5EA
	v_mfma_f32_16x16x16_f16 v[180:183], a[236:237], v[124:125], v[180:183]// 00000000E430: D3CD00B4 0ED2F9EC
	v_mfma_f32_16x16x16_f16 v[180:183], a[238:239], v[126:127], v[180:183]// 00000000E438: D3CD00B4 0ED2FDEE
	v_mfma_f32_16x16x16_f16 v[180:183], a[240:241], v[128:129], v[180:183]// 00000000E440: D3CD00B4 0ED301F0
	v_mfma_f32_16x16x16_f16 v[180:183], a[242:243], v[130:131], v[180:183]// 00000000E448: D3CD00B4 0ED305F2
	v_mfma_f32_16x16x16_f16 v[180:183], a[244:245], v[132:133], v[180:183]// 00000000E450: D3CD00B4 0ED309F4
	v_mfma_f32_16x16x16_f16 v[180:183], a[246:247], v[134:135], v[180:183]// 00000000E458: D3CD00B4 0ED30DF6
	v_mfma_f32_16x16x16_f16 v[180:183], a[248:249], v[136:137], v[180:183]// 00000000E460: D3CD00B4 0ED311F8
	v_mfma_f32_16x16x16_f16 v[180:183], a[250:251], v[138:139], v[180:183]// 00000000E468: D3CD00B4 0ED315FA
	v_mfma_f32_16x16x16_f16 v[180:183], a[252:253], v[140:141], v[180:183]// 00000000E470: D3CD00B4 0ED319FC
	v_mfma_f32_16x16x16_f16 v[180:183], a[254:255], v[142:143], v[180:183]// 00000000E478: D3CD00B4 0ED31DFE
	v_mfma_f32_16x16x16_f16 v[184:187], a[192:193], v[144:145], v[184:187]// 00000000E480: D3CD00B8 0EE321C0
	v_mfma_f32_16x16x16_f16 v[184:187], a[194:195], v[146:147], v[184:187]// 00000000E488: D3CD00B8 0EE325C2
	v_mfma_f32_16x16x16_f16 v[184:187], a[196:197], v[148:149], v[184:187]// 00000000E490: D3CD00B8 0EE329C4
	v_mfma_f32_16x16x16_f16 v[184:187], a[198:199], v[150:151], v[184:187]// 00000000E498: D3CD00B8 0EE32DC6
	v_mfma_f32_16x16x16_f16 v[184:187], a[200:201], v[152:153], v[184:187]// 00000000E4A0: D3CD00B8 0EE331C8
	v_mfma_f32_16x16x16_f16 v[184:187], a[202:203], v[154:155], v[184:187]// 00000000E4A8: D3CD00B8 0EE335CA
	v_mfma_f32_16x16x16_f16 v[184:187], a[204:205], v[156:157], v[184:187]// 00000000E4B0: D3CD00B8 0EE339CC
	v_mfma_f32_16x16x16_f16 v[184:187], a[206:207], v[158:159], v[184:187]// 00000000E4B8: D3CD00B8 0EE33DCE
	v_mfma_f32_16x16x16_f16 v[184:187], a[208:209], v[160:161], v[184:187]// 00000000E4C0: D3CD00B8 0EE341D0
	v_mfma_f32_16x16x16_f16 v[184:187], a[210:211], v[162:163], v[184:187]// 00000000E4C8: D3CD00B8 0EE345D2
	v_mfma_f32_16x16x16_f16 v[184:187], a[212:213], v[164:165], v[184:187]// 00000000E4D0: D3CD00B8 0EE349D4
	v_mfma_f32_16x16x16_f16 v[184:187], a[214:215], v[166:167], v[184:187]// 00000000E4D8: D3CD00B8 0EE34DD6
	v_mfma_f32_16x16x16_f16 v[184:187], a[216:217], v[168:169], v[184:187]// 00000000E4E0: D3CD00B8 0EE351D8
	v_mfma_f32_16x16x16_f16 v[184:187], a[218:219], v[170:171], v[184:187]// 00000000E4E8: D3CD00B8 0EE355DA
	v_mfma_f32_16x16x16_f16 v[184:187], a[220:221], v[172:173], v[184:187]// 00000000E4F0: D3CD00B8 0EE359DC
	v_mfma_f32_16x16x16_f16 v[184:187], a[222:223], v[174:175], v[184:187]// 00000000E4F8: D3CD00B8 0EE35DDE
	v_mfma_f32_16x16x16_f16 v[188:191], a[224:225], v[144:145], v[188:191]// 00000000E500: D3CD00BC 0EF321E0
	v_mfma_f32_16x16x16_f16 v[188:191], a[226:227], v[146:147], v[188:191]// 00000000E508: D3CD00BC 0EF325E2
	v_mfma_f32_16x16x16_f16 v[188:191], a[228:229], v[148:149], v[188:191]// 00000000E510: D3CD00BC 0EF329E4
	v_mfma_f32_16x16x16_f16 v[188:191], a[230:231], v[150:151], v[188:191]// 00000000E518: D3CD00BC 0EF32DE6
	v_mfma_f32_16x16x16_f16 v[188:191], a[232:233], v[152:153], v[188:191]// 00000000E520: D3CD00BC 0EF331E8
	v_mfma_f32_16x16x16_f16 v[188:191], a[234:235], v[154:155], v[188:191]// 00000000E528: D3CD00BC 0EF335EA
	v_mfma_f32_16x16x16_f16 v[188:191], a[236:237], v[156:157], v[188:191]// 00000000E530: D3CD00BC 0EF339EC
	v_mfma_f32_16x16x16_f16 v[188:191], a[238:239], v[158:159], v[188:191]// 00000000E538: D3CD00BC 0EF33DEE
	v_mfma_f32_16x16x16_f16 v[188:191], a[240:241], v[160:161], v[188:191]// 00000000E540: D3CD00BC 0EF341F0
	v_mfma_f32_16x16x16_f16 v[188:191], a[242:243], v[162:163], v[188:191]// 00000000E548: D3CD00BC 0EF345F2
	v_mfma_f32_16x16x16_f16 v[188:191], a[244:245], v[164:165], v[188:191]// 00000000E550: D3CD00BC 0EF349F4
	v_mfma_f32_16x16x16_f16 v[188:191], a[246:247], v[166:167], v[188:191]// 00000000E558: D3CD00BC 0EF34DF6
	v_mfma_f32_16x16x16_f16 v[188:191], a[248:249], v[168:169], v[188:191]// 00000000E560: D3CD00BC 0EF351F8
	v_mfma_f32_16x16x16_f16 v[188:191], a[250:251], v[170:171], v[188:191]// 00000000E568: D3CD00BC 0EF355FA
	v_mfma_f32_16x16x16_f16 v[188:191], a[252:253], v[172:173], v[188:191]// 00000000E570: D3CD00BC 0EF359FC
	v_mfma_f32_16x16x16_f16 v[188:191], a[254:255], v[174:175], v[188:191]// 00000000E578: D3CD00BC 0EF35DFE
	s_nop 8                                                    // 00000000E580: BF800008
	s_branch label_30E3                                        // 00000000E584: BF820000

000000000000e588 <label_30E3>:
	s_mov_b32 s60, 0xa0                                        // 00000000E588: BEBC00FF 000000A0
	s_cmp_eq_i32 s60, s88                                      // 00000000E590: BF00583C
	s_cbranch_scc1 label_31D8                                  // 00000000E594: BF8500F1
	ds_write_b32 v11, v43                                      // 00000000E598: D81A0000 00002B0B
	s_waitcnt lgkmcnt(0)                                       // 00000000E5A0: BF8CC07F
	s_barrier                                                  // 00000000E5A4: BF8A0000
	ds_read_b32 v64, v10                                       // 00000000E5A8: D86C0000 4000000A
	ds_read_b32 v65, v10 offset:64                             // 00000000E5B0: D86C0040 4100000A
	ds_read_b32 v66, v10 offset:128                            // 00000000E5B8: D86C0080 4200000A
	ds_read_b32 v67, v10 offset:192                            // 00000000E5C0: D86C00C0 4300000A
	ds_read_b32 v68, v10 offset:256                            // 00000000E5C8: D86C0100 4400000A
	ds_read_b32 v69, v10 offset:320                            // 00000000E5D0: D86C0140 4500000A
	ds_read_b32 v70, v10 offset:384                            // 00000000E5D8: D86C0180 4600000A
	ds_read_b32 v71, v10 offset:448                            // 00000000E5E0: D86C01C0 4700000A
	ds_read_b32 v72, v10 offset:512                            // 00000000E5E8: D86C0200 4800000A
	ds_read_b32 v73, v10 offset:576                            // 00000000E5F0: D86C0240 4900000A
	ds_read_b32 v74, v10 offset:640                            // 00000000E5F8: D86C0280 4A00000A
	ds_read_b32 v75, v10 offset:704                            // 00000000E600: D86C02C0 4B00000A
	ds_read_b32 v76, v10 offset:768                            // 00000000E608: D86C0300 4C00000A
	ds_read_b32 v77, v10 offset:832                            // 00000000E610: D86C0340 4D00000A
	ds_read_b32 v78, v10 offset:896                            // 00000000E618: D86C0380 4E00000A
	ds_read_b32 v79, v10 offset:960                            // 00000000E620: D86C03C0 4F00000A
	s_waitcnt lgkmcnt(0)                                       // 00000000E628: BF8CC07F
	v_mov_b32_e32 v43, 0                                       // 00000000E62C: 7E560280
	v_add_f32_e32 v43, v64, v43                                // 00000000E630: 02565740
	v_add_f32_e32 v43, v65, v43                                // 00000000E634: 02565741
	v_add_f32_e32 v43, v66, v43                                // 00000000E638: 02565742
	v_add_f32_e32 v43, v67, v43                                // 00000000E63C: 02565743
	v_add_f32_e32 v43, v68, v43                                // 00000000E640: 02565744
	v_add_f32_e32 v43, v69, v43                                // 00000000E644: 02565745
	v_add_f32_e32 v43, v70, v43                                // 00000000E648: 02565746
	v_add_f32_e32 v43, v71, v43                                // 00000000E64C: 02565747
	v_add_f32_e32 v43, v72, v43                                // 00000000E650: 02565748
	v_add_f32_e32 v43, v73, v43                                // 00000000E654: 02565749
	v_add_f32_e32 v43, v74, v43                                // 00000000E658: 0256574A
	v_add_f32_e32 v43, v75, v43                                // 00000000E65C: 0256574B
	v_add_f32_e32 v43, v76, v43                                // 00000000E660: 0256574C
	v_add_f32_e32 v43, v77, v43                                // 00000000E664: 0256574D
	v_add_f32_e32 v43, v78, v43                                // 00000000E668: 0256574E
	v_add_f32_e32 v43, v79, v43                                // 00000000E66C: 0256574F
	s_nop 1                                                    // 00000000E670: BF800001
	v_rcp_f32_e32 v43, v43                                     // 00000000E674: 7E56452B
	s_nop 1                                                    // 00000000E678: BF800001
	v_mul_f32_e32 v176, v43, v176                              // 00000000E67C: 0B61612B
	v_mul_f32_e32 v177, v43, v177                              // 00000000E680: 0B63632B
	v_mul_f32_e32 v178, v43, v178                              // 00000000E684: 0B65652B
	v_mul_f32_e32 v179, v43, v179                              // 00000000E688: 0B67672B
	v_mul_f32_e32 v180, v43, v180                              // 00000000E68C: 0B69692B
	v_mul_f32_e32 v181, v43, v181                              // 00000000E690: 0B6B6B2B
	v_mul_f32_e32 v182, v43, v182                              // 00000000E694: 0B6D6D2B
	v_mul_f32_e32 v183, v43, v183                              // 00000000E698: 0B6F6F2B
	v_cvt_pkrtz_f16_f32 v39, v176, v177                        // 00000000E69C: D2960027 000363B0
	v_mov_b32_e32 v176, v39                                    // 00000000E6A4: 7F600327
	v_cvt_pkrtz_f16_f32 v39, v178, v179                        // 00000000E6A8: D2960027 000367B2
	v_mov_b32_e32 v177, v39                                    // 00000000E6B0: 7F620327
	v_cvt_pkrtz_f16_f32 v39, v180, v181                        // 00000000E6B4: D2960027 00036BB4
	v_mov_b32_e32 v178, v39                                    // 00000000E6BC: 7F640327
	v_cvt_pkrtz_f16_f32 v39, v182, v183                        // 00000000E6C0: D2960027 00036FB6
	v_mov_b32_e32 v179, v39                                    // 00000000E6C8: 7F660327
	v_lshrrev_b32_e32 v39, 4, v0                               // 00000000E6CC: 204E0084
	v_mul_i32_i24_e32 v5, 34, v39                              // 00000000E6D0: 0C0A4EA2
	v_and_b32_e32 v39, 15, v0                                  // 00000000E6D4: 264E008F
	v_mul_i32_i24_e32 v40, 2, v39                              // 00000000E6D8: 0C504E82
	v_add_u32_e32 v5, v40, v5                                  // 00000000E6DC: 680A0B28
	s_mul_i32 s60, s7, 0x88                                    // 00000000E6E0: 923CFF07 00000088
	v_add_u32_e32 v5, s60, v5                                  // 00000000E6E8: 680A0A3C
	v_lshlrev_b32_e32 v5, 2, v5                                // 00000000E6EC: 240A0A82
	ds_write_b64 v5, v[176:177] offset:36864                   // 00000000E6F0: D89A9000 0000B005
	ds_write_b64 v5, v[178:179] offset:39040                   // 00000000E6F8: D89A9880 0000B205
	v_lshrrev_b32_e32 v39, 1, v0                               // 00000000E700: 204E0081
	v_mul_i32_i24_e32 v5, 34, v39                              // 00000000E704: 0C0A4EA2
	v_and_b32_e32 v40, 1, v0                                   // 00000000E708: 26500081
	v_add_u32_e32 v5, v40, v5                                  // 00000000E70C: 680A0B28
	s_mul_i32 s60, s7, 2                                       // 00000000E710: 923C8207
	v_add_u32_e32 v5, s60, v5                                  // 00000000E714: 680A0A3C
	v_lshlrev_b32_e32 v5, 2, v5                                // 00000000E718: 240A0A82
	s_waitcnt lgkmcnt(0)                                       // 00000000E71C: BF8CC07F
	s_barrier                                                  // 00000000E720: BF8A0000
	ds_read_b32 v176, v5 offset:36864                          // 00000000E724: D86C9000 B0000005
	ds_read_b32 v177, v5 offset:36896                          // 00000000E72C: D86C9020 B1000005
	ds_read_b32 v178, v5 offset:36928                          // 00000000E734: D86C9040 B2000005
	ds_read_b32 v179, v5 offset:36960                          // 00000000E73C: D86C9060 B3000005
	s_waitcnt lgkmcnt(0)                                       // 00000000E744: BF8CC07F
	buffer_store_dword v176, v8, s[8:11], 0 offen              // 00000000E748: E0701000 8002B008
	buffer_store_dword v177, v8, s[8:11], 0 offen offset:1024  // 00000000E750: E0701400 8002B108
	s_add_u32 s8, s75, s8                                      // 00000000E758: 8008084B
	s_addc_u32 s9, 0, s9                                       // 00000000E75C: 82090980
	buffer_store_dword v178, v8, s[8:11], 0 offen              // 00000000E760: E0701000 8002B208
	buffer_store_dword v179, v8, s[8:11], 0 offen offset:1024  // 00000000E768: E0701400 8002B308
	s_add_u32 s8, s75, s8                                      // 00000000E770: 8008084B
	s_addc_u32 s9, 0, s9                                       // 00000000E774: 82090980
	ds_write_b32 v11, v44                                      // 00000000E778: D81A0000 00002C0B
	s_waitcnt lgkmcnt(0)                                       // 00000000E780: BF8CC07F
	s_barrier                                                  // 00000000E784: BF8A0000
	ds_read_b32 v64, v10                                       // 00000000E788: D86C0000 4000000A
	ds_read_b32 v65, v10 offset:64                             // 00000000E790: D86C0040 4100000A
	ds_read_b32 v66, v10 offset:128                            // 00000000E798: D86C0080 4200000A
	ds_read_b32 v67, v10 offset:192                            // 00000000E7A0: D86C00C0 4300000A
	ds_read_b32 v68, v10 offset:256                            // 00000000E7A8: D86C0100 4400000A
	ds_read_b32 v69, v10 offset:320                            // 00000000E7B0: D86C0140 4500000A
	ds_read_b32 v70, v10 offset:384                            // 00000000E7B8: D86C0180 4600000A
	ds_read_b32 v71, v10 offset:448                            // 00000000E7C0: D86C01C0 4700000A
	ds_read_b32 v72, v10 offset:512                            // 00000000E7C8: D86C0200 4800000A
	ds_read_b32 v73, v10 offset:576                            // 00000000E7D0: D86C0240 4900000A
	ds_read_b32 v74, v10 offset:640                            // 00000000E7D8: D86C0280 4A00000A
	ds_read_b32 v75, v10 offset:704                            // 00000000E7E0: D86C02C0 4B00000A
	ds_read_b32 v76, v10 offset:768                            // 00000000E7E8: D86C0300 4C00000A
	ds_read_b32 v77, v10 offset:832                            // 00000000E7F0: D86C0340 4D00000A
	ds_read_b32 v78, v10 offset:896                            // 00000000E7F8: D86C0380 4E00000A
	ds_read_b32 v79, v10 offset:960                            // 00000000E800: D86C03C0 4F00000A
	s_waitcnt lgkmcnt(0)                                       // 00000000E808: BF8CC07F
	v_mov_b32_e32 v44, 0                                       // 00000000E80C: 7E580280
	v_add_f32_e32 v44, v64, v44                                // 00000000E810: 02585940
	v_add_f32_e32 v44, v65, v44                                // 00000000E814: 02585941
	v_add_f32_e32 v44, v66, v44                                // 00000000E818: 02585942
	v_add_f32_e32 v44, v67, v44                                // 00000000E81C: 02585943
	v_add_f32_e32 v44, v68, v44                                // 00000000E820: 02585944
	v_add_f32_e32 v44, v69, v44                                // 00000000E824: 02585945
	v_add_f32_e32 v44, v70, v44                                // 00000000E828: 02585946
	v_add_f32_e32 v44, v71, v44                                // 00000000E82C: 02585947
	v_add_f32_e32 v44, v72, v44                                // 00000000E830: 02585948
	v_add_f32_e32 v44, v73, v44                                // 00000000E834: 02585949
	v_add_f32_e32 v44, v74, v44                                // 00000000E838: 0258594A
	v_add_f32_e32 v44, v75, v44                                // 00000000E83C: 0258594B
	v_add_f32_e32 v44, v76, v44                                // 00000000E840: 0258594C
	v_add_f32_e32 v44, v77, v44                                // 00000000E844: 0258594D
	v_add_f32_e32 v44, v78, v44                                // 00000000E848: 0258594E
	v_add_f32_e32 v44, v79, v44                                // 00000000E84C: 0258594F
	s_nop 1                                                    // 00000000E850: BF800001
	v_rcp_f32_e32 v44, v44                                     // 00000000E854: 7E58452C
	s_nop 1                                                    // 00000000E858: BF800001
	v_mul_f32_e32 v184, v44, v184                              // 00000000E85C: 0B71712C
	v_mul_f32_e32 v185, v44, v185                              // 00000000E860: 0B73732C
	v_mul_f32_e32 v186, v44, v186                              // 00000000E864: 0B75752C
	v_mul_f32_e32 v187, v44, v187                              // 00000000E868: 0B77772C
	v_mul_f32_e32 v188, v44, v188                              // 00000000E86C: 0B79792C
	v_mul_f32_e32 v189, v44, v189                              // 00000000E870: 0B7B7B2C
	v_mul_f32_e32 v190, v44, v190                              // 00000000E874: 0B7D7D2C
	v_mul_f32_e32 v191, v44, v191                              // 00000000E878: 0B7F7F2C
	v_cvt_pkrtz_f16_f32 v39, v184, v185                        // 00000000E87C: D2960027 000373B8
	v_mov_b32_e32 v184, v39                                    // 00000000E884: 7F700327
	v_cvt_pkrtz_f16_f32 v39, v186, v187                        // 00000000E888: D2960027 000377BA
	v_mov_b32_e32 v185, v39                                    // 00000000E890: 7F720327
	v_cvt_pkrtz_f16_f32 v39, v188, v189                        // 00000000E894: D2960027 00037BBC
	v_mov_b32_e32 v186, v39                                    // 00000000E89C: 7F740327
	v_cvt_pkrtz_f16_f32 v39, v190, v191                        // 00000000E8A0: D2960027 00037FBE
	v_mov_b32_e32 v187, v39                                    // 00000000E8A8: 7F760327
	v_lshrrev_b32_e32 v39, 4, v0                               // 00000000E8AC: 204E0084
	v_mul_i32_i24_e32 v5, 34, v39                              // 00000000E8B0: 0C0A4EA2
	v_and_b32_e32 v39, 15, v0                                  // 00000000E8B4: 264E008F
	v_mul_i32_i24_e32 v40, 2, v39                              // 00000000E8B8: 0C504E82
	v_add_u32_e32 v5, v40, v5                                  // 00000000E8BC: 680A0B28
	s_mul_i32 s60, s7, 0x88                                    // 00000000E8C0: 923CFF07 00000088
	v_add_u32_e32 v5, s60, v5                                  // 00000000E8C8: 680A0A3C
	v_lshlrev_b32_e32 v5, 2, v5                                // 00000000E8CC: 240A0A82
	ds_write_b64 v5, v[184:185] offset:36864                   // 00000000E8D0: D89A9000 0000B805
	ds_write_b64 v5, v[186:187] offset:39040                   // 00000000E8D8: D89A9880 0000BA05
	v_lshrrev_b32_e32 v39, 1, v0                               // 00000000E8E0: 204E0081
	v_mul_i32_i24_e32 v5, 34, v39                              // 00000000E8E4: 0C0A4EA2
	v_and_b32_e32 v40, 1, v0                                   // 00000000E8E8: 26500081
	v_add_u32_e32 v5, v40, v5                                  // 00000000E8EC: 680A0B28
	s_mul_i32 s60, s7, 2                                       // 00000000E8F0: 923C8207
	v_add_u32_e32 v5, s60, v5                                  // 00000000E8F4: 680A0A3C
	v_lshlrev_b32_e32 v5, 2, v5                                // 00000000E8F8: 240A0A82
	s_waitcnt lgkmcnt(0)                                       // 00000000E8FC: BF8CC07F
	s_barrier                                                  // 00000000E900: BF8A0000
	ds_read_b32 v184, v5 offset:36864                          // 00000000E904: D86C9000 B8000005
	ds_read_b32 v185, v5 offset:36896                          // 00000000E90C: D86C9020 B9000005
	ds_read_b32 v186, v5 offset:36928                          // 00000000E914: D86C9040 BA000005
	ds_read_b32 v187, v5 offset:36960                          // 00000000E91C: D86C9060 BB000005
	s_waitcnt lgkmcnt(0)                                       // 00000000E924: BF8CC07F
	buffer_store_dword v184, v8, s[8:11], 0 offen              // 00000000E928: E0701000 8002B808
	buffer_store_dword v185, v8, s[8:11], 0 offen offset:1024  // 00000000E930: E0701400 8002B908
	s_add_u32 s8, s75, s8                                      // 00000000E938: 8008084B
	s_addc_u32 s9, 0, s9                                       // 00000000E93C: 82090980
	buffer_store_dword v186, v8, s[8:11], 0 offen              // 00000000E940: E0701000 8002BA08
	buffer_store_dword v187, v8, s[8:11], 0 offen offset:1024  // 00000000E948: E0701400 8002BB08
	s_add_u32 s8, s75, s8                                      // 00000000E950: 8008084B
	s_addc_u32 s9, 0, s9                                       // 00000000E954: 82090980
	s_branch label_32C2                                        // 00000000E958: BF8200EA

000000000000e95c <label_31D8>:
	ds_write_b32 v11, v43                                      // 00000000E95C: D81A0000 00002B0B
	s_waitcnt lgkmcnt(0)                                       // 00000000E964: BF8CC07F
	s_barrier                                                  // 00000000E968: BF8A0000
	ds_read_b32 v64, v10                                       // 00000000E96C: D86C0000 4000000A
	ds_read_b32 v65, v10 offset:64                             // 00000000E974: D86C0040 4100000A
	ds_read_b32 v66, v10 offset:128                            // 00000000E97C: D86C0080 4200000A
	ds_read_b32 v67, v10 offset:192                            // 00000000E984: D86C00C0 4300000A
	ds_read_b32 v68, v10 offset:256                            // 00000000E98C: D86C0100 4400000A
	ds_read_b32 v69, v10 offset:320                            // 00000000E994: D86C0140 4500000A
	ds_read_b32 v70, v10 offset:384                            // 00000000E99C: D86C0180 4600000A
	ds_read_b32 v71, v10 offset:448                            // 00000000E9A4: D86C01C0 4700000A
	ds_read_b32 v72, v10 offset:512                            // 00000000E9AC: D86C0200 4800000A
	ds_read_b32 v73, v10 offset:576                            // 00000000E9B4: D86C0240 4900000A
	ds_read_b32 v74, v10 offset:640                            // 00000000E9BC: D86C0280 4A00000A
	ds_read_b32 v75, v10 offset:704                            // 00000000E9C4: D86C02C0 4B00000A
	ds_read_b32 v76, v10 offset:768                            // 00000000E9CC: D86C0300 4C00000A
	ds_read_b32 v77, v10 offset:832                            // 00000000E9D4: D86C0340 4D00000A
	ds_read_b32 v78, v10 offset:896                            // 00000000E9DC: D86C0380 4E00000A
	ds_read_b32 v79, v10 offset:960                            // 00000000E9E4: D86C03C0 4F00000A
	s_waitcnt lgkmcnt(0)                                       // 00000000E9EC: BF8CC07F
	v_mov_b32_e32 v43, 0                                       // 00000000E9F0: 7E560280
	v_add_f32_e32 v43, v64, v43                                // 00000000E9F4: 02565740
	v_add_f32_e32 v43, v65, v43                                // 00000000E9F8: 02565741
	v_add_f32_e32 v43, v66, v43                                // 00000000E9FC: 02565742
	v_add_f32_e32 v43, v67, v43                                // 00000000EA00: 02565743
	v_add_f32_e32 v43, v68, v43                                // 00000000EA04: 02565744
	v_add_f32_e32 v43, v69, v43                                // 00000000EA08: 02565745
	v_add_f32_e32 v43, v70, v43                                // 00000000EA0C: 02565746
	v_add_f32_e32 v43, v71, v43                                // 00000000EA10: 02565747
	v_add_f32_e32 v43, v72, v43                                // 00000000EA14: 02565748
	v_add_f32_e32 v43, v73, v43                                // 00000000EA18: 02565749
	v_add_f32_e32 v43, v74, v43                                // 00000000EA1C: 0256574A
	v_add_f32_e32 v43, v75, v43                                // 00000000EA20: 0256574B
	v_add_f32_e32 v43, v76, v43                                // 00000000EA24: 0256574C
	v_add_f32_e32 v43, v77, v43                                // 00000000EA28: 0256574D
	v_add_f32_e32 v43, v78, v43                                // 00000000EA2C: 0256574E
	v_add_f32_e32 v43, v79, v43                                // 00000000EA30: 0256574F
	s_nop 1                                                    // 00000000EA34: BF800001
	v_rcp_f32_e32 v43, v43                                     // 00000000EA38: 7E56452B
	s_nop 1                                                    // 00000000EA3C: BF800001
	v_mul_f32_e32 v176, v43, v176                              // 00000000EA40: 0B61612B
	v_mul_f32_e32 v177, v43, v177                              // 00000000EA44: 0B63632B
	v_mul_f32_e32 v178, v43, v178                              // 00000000EA48: 0B65652B
	v_mul_f32_e32 v179, v43, v179                              // 00000000EA4C: 0B67672B
	v_mul_f32_e32 v180, v43, v180                              // 00000000EA50: 0B69692B
	v_mul_f32_e32 v181, v43, v181                              // 00000000EA54: 0B6B6B2B
	v_mul_f32_e32 v182, v43, v182                              // 00000000EA58: 0B6D6D2B
	v_mul_f32_e32 v183, v43, v183                              // 00000000EA5C: 0B6F6F2B
	v_cvt_pkrtz_f16_f32 v39, v176, v177                        // 00000000EA60: D2960027 000363B0
	v_mov_b32_e32 v176, v39                                    // 00000000EA68: 7F600327
	v_cvt_pkrtz_f16_f32 v39, v178, v179                        // 00000000EA6C: D2960027 000367B2
	v_mov_b32_e32 v177, v39                                    // 00000000EA74: 7F620327
	v_cvt_pkrtz_f16_f32 v39, v180, v181                        // 00000000EA78: D2960027 00036BB4
	v_mov_b32_e32 v178, v39                                    // 00000000EA80: 7F640327
	v_cvt_pkrtz_f16_f32 v39, v182, v183                        // 00000000EA84: D2960027 00036FB6
	v_mov_b32_e32 v179, v39                                    // 00000000EA8C: 7F660327
	v_lshrrev_b32_e32 v39, 4, v0                               // 00000000EA90: 204E0084
	v_mul_i32_i24_e32 v5, 34, v39                              // 00000000EA94: 0C0A4EA2
	v_and_b32_e32 v39, 15, v0                                  // 00000000EA98: 264E008F
	v_mul_i32_i24_e32 v40, 2, v39                              // 00000000EA9C: 0C504E82
	v_add_u32_e32 v5, v40, v5                                  // 00000000EAA0: 680A0B28
	s_mul_i32 s60, s7, 0x88                                    // 00000000EAA4: 923CFF07 00000088
	v_add_u32_e32 v5, s60, v5                                  // 00000000EAAC: 680A0A3C
	v_lshlrev_b32_e32 v5, 2, v5                                // 00000000EAB0: 240A0A82
	ds_write_b64 v5, v[176:177] offset:36864                   // 00000000EAB4: D89A9000 0000B005
	ds_write_b64 v5, v[178:179] offset:39040                   // 00000000EABC: D89A9880 0000B205
	v_lshrrev_b32_e32 v39, 1, v0                               // 00000000EAC4: 204E0081
	v_mul_i32_i24_e32 v5, 34, v39                              // 00000000EAC8: 0C0A4EA2
	v_and_b32_e32 v40, 1, v0                                   // 00000000EACC: 26500081
	v_add_u32_e32 v5, v40, v5                                  // 00000000EAD0: 680A0B28
	s_mul_i32 s60, s7, 2                                       // 00000000EAD4: 923C8207
	v_add_u32_e32 v5, s60, v5                                  // 00000000EAD8: 680A0A3C
	v_lshlrev_b32_e32 v5, 2, v5                                // 00000000EADC: 240A0A82
	s_waitcnt lgkmcnt(0)                                       // 00000000EAE0: BF8CC07F
	s_barrier                                                  // 00000000EAE4: BF8A0000
	ds_read_b32 v176, v5 offset:36864                          // 00000000EAE8: D86C9000 B0000005
	ds_read_b32 v177, v5 offset:36896                          // 00000000EAF0: D86C9020 B1000005
	ds_read_b32 v178, v5 offset:36928                          // 00000000EAF8: D86C9040 B2000005
	ds_read_b32 v179, v5 offset:36960                          // 00000000EB00: D86C9060 B3000005
	s_waitcnt lgkmcnt(0)                                       // 00000000EB08: BF8CC07F
	buffer_store_dword v176, v8, s[8:11], 0 offen              // 00000000EB0C: E0701000 8002B008
	buffer_store_dword v177, v8, s[8:11], 0 offen offset:1024  // 00000000EB14: E0701400 8002B108
	s_add_u32 s8, s75, s8                                      // 00000000EB1C: 8008084B
	s_addc_u32 s9, 0, s9                                       // 00000000EB20: 82090980
	buffer_store_dword v178, v8, s[8:11], 0 offen              // 00000000EB24: E0701000 8002B208
	buffer_store_dword v179, v8, s[8:11], 0 offen offset:1024  // 00000000EB2C: E0701400 8002B308
	s_add_u32 s8, s75, s8                                      // 00000000EB34: 8008084B
	s_addc_u32 s9, 0, s9                                       // 00000000EB38: 82090980
	ds_write_b32 v11, v44                                      // 00000000EB3C: D81A0000 00002C0B
	s_waitcnt lgkmcnt(0)                                       // 00000000EB44: BF8CC07F
	s_barrier                                                  // 00000000EB48: BF8A0000
	ds_read_b32 v64, v10                                       // 00000000EB4C: D86C0000 4000000A
	ds_read_b32 v65, v10 offset:64                             // 00000000EB54: D86C0040 4100000A
	ds_read_b32 v66, v10 offset:128                            // 00000000EB5C: D86C0080 4200000A
	ds_read_b32 v67, v10 offset:192                            // 00000000EB64: D86C00C0 4300000A
	ds_read_b32 v68, v10 offset:256                            // 00000000EB6C: D86C0100 4400000A
	ds_read_b32 v69, v10 offset:320                            // 00000000EB74: D86C0140 4500000A
	ds_read_b32 v70, v10 offset:384                            // 00000000EB7C: D86C0180 4600000A
	ds_read_b32 v71, v10 offset:448                            // 00000000EB84: D86C01C0 4700000A
	ds_read_b32 v72, v10 offset:512                            // 00000000EB8C: D86C0200 4800000A
	ds_read_b32 v73, v10 offset:576                            // 00000000EB94: D86C0240 4900000A
	ds_read_b32 v74, v10 offset:640                            // 00000000EB9C: D86C0280 4A00000A
	ds_read_b32 v75, v10 offset:704                            // 00000000EBA4: D86C02C0 4B00000A
	ds_read_b32 v76, v10 offset:768                            // 00000000EBAC: D86C0300 4C00000A
	ds_read_b32 v77, v10 offset:832                            // 00000000EBB4: D86C0340 4D00000A
	ds_read_b32 v78, v10 offset:896                            // 00000000EBBC: D86C0380 4E00000A
	ds_read_b32 v79, v10 offset:960                            // 00000000EBC4: D86C03C0 4F00000A
	s_waitcnt lgkmcnt(0)                                       // 00000000EBCC: BF8CC07F
	v_mov_b32_e32 v44, 0                                       // 00000000EBD0: 7E580280
	v_add_f32_e32 v44, v64, v44                                // 00000000EBD4: 02585940
	v_add_f32_e32 v44, v65, v44                                // 00000000EBD8: 02585941
	v_add_f32_e32 v44, v66, v44                                // 00000000EBDC: 02585942
	v_add_f32_e32 v44, v67, v44                                // 00000000EBE0: 02585943
	v_add_f32_e32 v44, v68, v44                                // 00000000EBE4: 02585944
	v_add_f32_e32 v44, v69, v44                                // 00000000EBE8: 02585945
	v_add_f32_e32 v44, v70, v44                                // 00000000EBEC: 02585946
	v_add_f32_e32 v44, v71, v44                                // 00000000EBF0: 02585947
	v_add_f32_e32 v44, v72, v44                                // 00000000EBF4: 02585948
	v_add_f32_e32 v44, v73, v44                                // 00000000EBF8: 02585949
	v_add_f32_e32 v44, v74, v44                                // 00000000EBFC: 0258594A
	v_add_f32_e32 v44, v75, v44                                // 00000000EC00: 0258594B
	v_add_f32_e32 v44, v76, v44                                // 00000000EC04: 0258594C
	v_add_f32_e32 v44, v77, v44                                // 00000000EC08: 0258594D
	v_add_f32_e32 v44, v78, v44                                // 00000000EC0C: 0258594E
	v_add_f32_e32 v44, v79, v44                                // 00000000EC10: 0258594F
	s_nop 1                                                    // 00000000EC14: BF800001
	v_rcp_f32_e32 v44, v44                                     // 00000000EC18: 7E58452C
	s_nop 1                                                    // 00000000EC1C: BF800001
	v_mul_f32_e32 v184, v44, v184                              // 00000000EC20: 0B71712C
	v_mul_f32_e32 v185, v44, v185                              // 00000000EC24: 0B73732C
	v_mul_f32_e32 v186, v44, v186                              // 00000000EC28: 0B75752C
	v_mul_f32_e32 v187, v44, v187                              // 00000000EC2C: 0B77772C
	v_mul_f32_e32 v188, v44, v188                              // 00000000EC30: 0B79792C
	v_mul_f32_e32 v189, v44, v189                              // 00000000EC34: 0B7B7B2C
	v_mul_f32_e32 v190, v44, v190                              // 00000000EC38: 0B7D7D2C
	v_mul_f32_e32 v191, v44, v191                              // 00000000EC3C: 0B7F7F2C
	v_cvt_pkrtz_f16_f32 v39, v184, v185                        // 00000000EC40: D2960027 000373B8
	v_mov_b32_e32 v184, v39                                    // 00000000EC48: 7F700327
	v_cvt_pkrtz_f16_f32 v39, v186, v187                        // 00000000EC4C: D2960027 000377BA
	v_mov_b32_e32 v185, v39                                    // 00000000EC54: 7F720327
	v_cvt_pkrtz_f16_f32 v39, v188, v189                        // 00000000EC58: D2960027 00037BBC
	v_mov_b32_e32 v186, v39                                    // 00000000EC60: 7F740327
	v_cvt_pkrtz_f16_f32 v39, v190, v191                        // 00000000EC64: D2960027 00037FBE
	v_mov_b32_e32 v187, v39                                    // 00000000EC6C: 7F760327
	v_lshrrev_b32_e32 v39, 4, v0                               // 00000000EC70: 204E0084
	v_mul_i32_i24_e32 v5, 34, v39                              // 00000000EC74: 0C0A4EA2
	v_and_b32_e32 v39, 15, v0                                  // 00000000EC78: 264E008F
	v_mul_i32_i24_e32 v40, 2, v39                              // 00000000EC7C: 0C504E82
	v_add_u32_e32 v5, v40, v5                                  // 00000000EC80: 680A0B28
	s_mul_i32 s60, s7, 0x88                                    // 00000000EC84: 923CFF07 00000088
	v_add_u32_e32 v5, s60, v5                                  // 00000000EC8C: 680A0A3C
	v_lshlrev_b32_e32 v5, 2, v5                                // 00000000EC90: 240A0A82
	ds_write_b64 v5, v[184:185] offset:36864                   // 00000000EC94: D89A9000 0000B805
	ds_write_b64 v5, v[186:187] offset:39040                   // 00000000EC9C: D89A9880 0000BA05
	v_lshrrev_b32_e32 v39, 1, v0                               // 00000000ECA4: 204E0081
	v_mul_i32_i24_e32 v5, 34, v39                              // 00000000ECA8: 0C0A4EA2
	v_and_b32_e32 v40, 1, v0                                   // 00000000ECAC: 26500081
	v_add_u32_e32 v5, v40, v5                                  // 00000000ECB0: 680A0B28
	s_mul_i32 s60, s7, 2                                       // 00000000ECB4: 923C8207
	v_add_u32_e32 v5, s60, v5                                  // 00000000ECB8: 680A0A3C
	v_lshlrev_b32_e32 v5, 2, v5                                // 00000000ECBC: 240A0A82
	s_waitcnt lgkmcnt(0)                                       // 00000000ECC0: BF8CC07F
	s_barrier                                                  // 00000000ECC4: BF8A0000
	ds_read_b32 v184, v5 offset:36864                          // 00000000ECC8: D86C9000 B8000005
	ds_read_b32 v185, v5 offset:36896                          // 00000000ECD0: D86C9020 B9000005
	ds_read_b32 v186, v5 offset:36928                          // 00000000ECD8: D86C9040 BA000005
	ds_read_b32 v187, v5 offset:36960                          // 00000000ECE0: D86C9060 BB000005
	s_waitcnt lgkmcnt(0)                                       // 00000000ECE8: BF8CC07F
	buffer_store_dword v184, v8, s[8:11], 0 offen              // 00000000ECEC: E0701000 8002B808
	buffer_store_dword v185, v8, s[8:11], 0 offen offset:1024  // 00000000ECF4: E0701400 8002B908
	s_add_u32 s8, s75, s8                                      // 00000000ECFC: 8008084B
	s_addc_u32 s9, 0, s9                                       // 00000000ED00: 82090980

000000000000ed04 <label_32C2>:
	s_waitcnt vmcnt(0) expcnt(0) lgkmcnt(0)                    // 00000000ED04: BF8C0000
	s_endpgm                                                   // 00000000ED08: BF810000
